;; amdgpu-corpus repo=ROCm/hip-tests kind=compiled arch=gfx90a opt=O3
	.text
	.amdgcn_target "amdgcn-amd-amdhsa--gfx90a"
	.amdhsa_code_object_version 6
	.protected	_Z11kernel_shflPiS_ii   ; -- Begin function _Z11kernel_shflPiS_ii
	.globl	_Z11kernel_shflPiS_ii
	.p2align	8
	.type	_Z11kernel_shflPiS_ii,@function
_Z11kernel_shflPiS_ii:                  ; @_Z11kernel_shflPiS_ii
; %bb.0:
	s_load_dwordx2 s[8:9], s[4:5], 0x10
	s_load_dword s0, s[4:5], 0x24
	s_waitcnt lgkmcnt(0)
	s_abs_i32 s1, s9
	v_cvt_f32_u32_e32 v1, s1
	s_and_b32 s0, s0, 0xffff
	s_mul_i32 s6, s6, s0
	v_add_u32_e32 v0, s6, v0
	v_rcp_iflag_f32_e32 v1, v1
	s_sub_i32 s0, 0, s1
	v_sub_u32_e32 v3, 0, v0
	v_ashrrev_i32_e32 v2, 31, v0
	v_mul_f32_e32 v1, 0x4f7ffffe, v1
	v_cvt_u32_f32_e32 v1, v1
	v_max_i32_e32 v0, v0, v3
	v_mul_lo_u32 v3, s0, v1
	v_mul_hi_u32 v3, v1, v3
	v_add_u32_e32 v1, v1, v3
	v_mul_hi_u32 v1, v0, v1
	v_mul_lo_u32 v1, v1, s1
	v_sub_u32_e32 v0, v0, v1
	v_subrev_u32_e32 v1, s1, v0
	v_cmp_le_u32_e32 vcc, s1, v0
	v_cndmask_b32_e32 v0, v0, v1, vcc
	v_subrev_u32_e32 v1, s1, v0
	v_cmp_le_u32_e32 vcc, s1, v0
	v_cndmask_b32_e32 v0, v0, v1, vcc
	v_xor_b32_e32 v0, v0, v2
	v_sub_u32_e32 v0, v0, v2
	v_cmp_eq_u32_e32 vcc, 0, v0
	s_and_saveexec_b64 s[0:1], vcc
	s_cbranch_execz .LBB0_11
; %bb.1:
	s_load_dwordx4 s[0:3], s[4:5], 0x0
	v_mbcnt_lo_u32_b32 v0, exec_lo, 0
	v_mbcnt_hi_u32_b32 v0, exec_hi, v0
	v_lshlrev_b32_e32 v0, 2, v0
	s_abs_i32 s4, s8
	s_waitcnt lgkmcnt(0)
	global_load_dword v1, v0, s[0:1]
	s_bcnt1_i32_b64 s0, exec
	v_cvt_f32_ubyte0_e32 v2, s0
	v_rcp_iflag_f32_e32 v2, v2
	s_sub_i32 s5, 0, s0
	s_ashr_i32 s1, s8, 31
	v_mul_f32_e32 v2, 0x4f7ffffe, v2
	v_cvt_u32_f32_e32 v2, v2
	v_readfirstlane_b32 s6, v2
	s_mul_i32 s5, s5, s6
	s_mul_hi_u32 s5, s6, s5
	s_add_i32 s6, s6, s5
	s_mul_hi_u32 s5, s4, s6
	s_mul_i32 s5, s5, s0
	s_sub_i32 s4, s4, s5
	s_sub_i32 s5, s4, s0
	s_cmp_ge_u32 s4, s0
	s_cselect_b32 s4, s5, s4
	s_sub_i32 s5, s4, s0
	s_cmp_ge_u32 s4, s0
	s_cselect_b32 s0, s5, s4
	s_xor_b32 s0, s0, s1
	s_sub_i32 s8, s0, s1
	s_mov_b64 s[4:5], -1
	s_cmp_eq_u64 exec, -1
	v_mov_b32_e32 v2, s8
	s_cbranch_scc1 .LBB0_10
; %bb.2:
	v_add_co_u32_e64 v2, s[0:1], s8, 1
	s_andn2_b64 vcc, exec, s[0:1]
	v_readfirstlane_b32 s9, v2
	s_cbranch_vccz .LBB0_5
; %bb.3:
	s_mov_b64 s[0:1], exec
	s_mov_b64 s[4:5], 0
	s_cmp_gt_i32 s8, -2
	s_mov_b64 s[6:7], 0
	s_cbranch_scc1 .LBB0_6
; %bb.4:
	s_not_b32 s9, s8
	s_brev_b64 s[0:1], exec
	s_mov_b64 s[6:7], 63
	s_branch .LBB0_6
.LBB0_5:
                                        ; implicit-def: $sgpr6_sgpr7
                                        ; implicit-def: $sgpr9
                                        ; implicit-def: $sgpr0_sgpr1
.LBB0_6:
	s_andn2_b64 vcc, exec, s[4:5]
	s_cbranch_vccnz .LBB0_8
; %bb.7:
	s_mov_b32 s9, 1
	s_and_b32 s0, exec_lo, 1
	s_mov_b32 s1, 0
	s_mov_b64 s[6:7], 0
.LBB0_8:
	s_lshl_b64 s[4:5], -1, s6
	s_and_b64 s[0:1], s[4:5], s[0:1]
	s_bcnt1_i32_b64 s4, s[0:1]
	s_cmp_gt_u32 s9, s4
	v_mov_b32_e32 v2, -1
	s_cbranch_scc1 .LBB0_10
; %bb.9:
	s_bcnt1_i32_b32 s6, s0
	s_cmp_gt_u32 s9, s6
	s_cselect_b64 s[4:5], -1, 0
	v_cndmask_b32_e64 v2, 0, 1, s[4:5]
	s_and_b64 s[4:5], s[4:5], exec
	s_cselect_b32 s0, s1, s0
	s_cselect_b32 s1, s6, 0
	s_and_b32 s5, s0, 0xffff
	s_sub_i32 s4, s9, s1
	s_bcnt1_i32_b32 s6, s5
	s_lshr_b32 s7, s0, 16
	s_cmp_gt_i32 s4, s6
	s_cselect_b64 s[0:1], -1, 0
	v_cndmask_b32_e64 v3, 0, 1, s[0:1]
	s_and_b64 s[0:1], s[0:1], exec
	s_cselect_b32 s0, s7, s5
	s_cselect_b32 s1, s6, 0
	s_and_b32 s5, s0, 0xff
	s_sub_i32 s4, s4, s1
	s_bcnt1_i32_b32 s6, s5
	s_lshr_b32 s7, s0, 8
	s_cmp_gt_i32 s4, s6
	v_lshlrev_b32_e32 v2, 5, v2
	v_lshlrev_b32_e32 v3, 4, v3
	s_cselect_b64 s[0:1], -1, 0
	v_or_b32_e32 v2, v3, v2
	v_cndmask_b32_e64 v3, 0, 1, s[0:1]
	s_and_b64 s[0:1], s[0:1], exec
	s_cselect_b32 s0, s7, s5
	s_cselect_b32 s1, s6, 0
	s_and_b32 s5, s0, 15
	s_sub_i32 s4, s4, s1
	s_bcnt1_i32_b32 s6, s5
	s_lshr_b32 s7, s0, 4
	s_cmp_gt_i32 s4, s6
	v_lshlrev_b32_e32 v3, 3, v3
	s_cselect_b64 s[0:1], -1, 0
	v_or_b32_e32 v2, v2, v3
	v_cndmask_b32_e64 v3, 0, 1, s[0:1]
	s_and_b64 s[0:1], s[0:1], exec
	s_cselect_b32 s5, s7, s5
	s_cselect_b32 s0, s6, 0
	s_sub_i32 s4, s4, s0
	s_and_b32 s0, s5, 3
	s_bcnt1_i32_b32 s6, s0
	s_lshr_b32 s7, s5, 2
	s_cmp_gt_i32 s4, s6
	v_lshlrev_b32_e32 v3, 2, v3
	s_cselect_b64 s[0:1], -1, 0
	v_or_b32_e32 v2, v2, v3
	v_cndmask_b32_e64 v3, 0, 1, s[0:1]
	s_and_b64 s[0:1], s[0:1], exec
	s_cselect_b32 s0, s6, 0
	s_cselect_b32 s1, s7, s5
	s_sub_i32 s0, s4, s0
	s_and_b32 s1, s1, 1
	s_cmp_gt_i32 s0, s1
	v_lshlrev_b32_e32 v3, 1, v3
	s_cselect_b64 s[0:1], -1, 0
	v_or_b32_e32 v2, v2, v3
	v_cndmask_b32_e64 v3, 0, 1, s[0:1]
	v_or_b32_e32 v2, v2, v3
	s_cmp_lt_i32 s8, -1
	v_xor_b32_e32 v3, 63, v2
	s_cselect_b64 vcc, -1, 0
	v_cndmask_b32_e32 v2, v2, v3, vcc
.LBB0_10:
	v_mbcnt_lo_u32_b32 v3, -1, 0
	v_mbcnt_hi_u32_b32 v3, -1, v3
	v_and_b32_e32 v2, 63, v2
	v_and_or_b32 v2, v3, 64, v2
	v_lshlrev_b32_e32 v2, 2, v2
	s_waitcnt vmcnt(0)
	ds_bpermute_b32 v1, v2, v1
	s_waitcnt lgkmcnt(0)
	global_store_dword v0, v1, s[2:3]
.LBB0_11:
	s_endpgm
	.section	.rodata,"a",@progbits
	.p2align	6, 0x0
	.amdhsa_kernel _Z11kernel_shflPiS_ii
		.amdhsa_group_segment_fixed_size 0
		.amdhsa_private_segment_fixed_size 0
		.amdhsa_kernarg_size 280
		.amdhsa_user_sgpr_count 6
		.amdhsa_user_sgpr_private_segment_buffer 1
		.amdhsa_user_sgpr_dispatch_ptr 0
		.amdhsa_user_sgpr_queue_ptr 0
		.amdhsa_user_sgpr_kernarg_segment_ptr 1
		.amdhsa_user_sgpr_dispatch_id 0
		.amdhsa_user_sgpr_flat_scratch_init 0
		.amdhsa_user_sgpr_kernarg_preload_length 0
		.amdhsa_user_sgpr_kernarg_preload_offset 0
		.amdhsa_user_sgpr_private_segment_size 0
		.amdhsa_uses_dynamic_stack 0
		.amdhsa_system_sgpr_private_segment_wavefront_offset 0
		.amdhsa_system_sgpr_workgroup_id_x 1
		.amdhsa_system_sgpr_workgroup_id_y 0
		.amdhsa_system_sgpr_workgroup_id_z 0
		.amdhsa_system_sgpr_workgroup_info 0
		.amdhsa_system_vgpr_workitem_id 0
		.amdhsa_next_free_vgpr 4
		.amdhsa_next_free_sgpr 10
		.amdhsa_accum_offset 4
		.amdhsa_reserve_vcc 1
		.amdhsa_reserve_flat_scratch 0
		.amdhsa_float_round_mode_32 0
		.amdhsa_float_round_mode_16_64 0
		.amdhsa_float_denorm_mode_32 3
		.amdhsa_float_denorm_mode_16_64 3
		.amdhsa_dx10_clamp 1
		.amdhsa_ieee_mode 1
		.amdhsa_fp16_overflow 0
		.amdhsa_tg_split 0
		.amdhsa_exception_fp_ieee_invalid_op 0
		.amdhsa_exception_fp_denorm_src 0
		.amdhsa_exception_fp_ieee_div_zero 0
		.amdhsa_exception_fp_ieee_overflow 0
		.amdhsa_exception_fp_ieee_underflow 0
		.amdhsa_exception_fp_ieee_inexact 0
		.amdhsa_exception_int_div_zero 0
	.end_amdhsa_kernel
	.text
.Lfunc_end0:
	.size	_Z11kernel_shflPiS_ii, .Lfunc_end0-_Z11kernel_shflPiS_ii
                                        ; -- End function
	.section	.AMDGPU.csdata,"",@progbits
; Kernel info:
; codeLenInByte = 772
; NumSgprs: 14
; NumVgprs: 4
; NumAgprs: 0
; TotalNumVgprs: 4
; ScratchSize: 0
; MemoryBound: 0
; FloatMode: 240
; IeeeMode: 1
; LDSByteSize: 0 bytes/workgroup (compile time only)
; SGPRBlocks: 1
; VGPRBlocks: 0
; NumSGPRsForWavesPerEU: 14
; NumVGPRsForWavesPerEU: 4
; AccumOffset: 4
; Occupancy: 8
; WaveLimiterHint : 0
; COMPUTE_PGM_RSRC2:SCRATCH_EN: 0
; COMPUTE_PGM_RSRC2:USER_SGPR: 6
; COMPUTE_PGM_RSRC2:TRAP_HANDLER: 0
; COMPUTE_PGM_RSRC2:TGID_X_EN: 1
; COMPUTE_PGM_RSRC2:TGID_Y_EN: 0
; COMPUTE_PGM_RSRC2:TGID_Z_EN: 0
; COMPUTE_PGM_RSRC2:TIDIG_COMP_CNT: 0
; COMPUTE_PGM_RSRC3_GFX90A:ACCUM_OFFSET: 0
; COMPUTE_PGM_RSRC3_GFX90A:TG_SPLIT: 0
	.text
	.protected	_Z22kernel_shfl_any_to_anyPiS_S_i ; -- Begin function _Z22kernel_shfl_any_to_anyPiS_S_i
	.globl	_Z22kernel_shfl_any_to_anyPiS_S_i
	.p2align	8
	.type	_Z22kernel_shfl_any_to_anyPiS_S_i,@function
_Z22kernel_shfl_any_to_anyPiS_S_i:      ; @_Z22kernel_shfl_any_to_anyPiS_S_i
; %bb.0:
	s_load_dword s0, s[4:5], 0x18
	s_load_dword s1, s[4:5], 0x2c
	s_waitcnt lgkmcnt(0)
	s_abs_i32 s0, s0
	v_cvt_f32_u32_e32 v1, s0
	s_and_b32 s1, s1, 0xffff
	s_mul_i32 s6, s6, s1
	v_add_u32_e32 v0, s6, v0
	v_rcp_iflag_f32_e32 v1, v1
	s_sub_i32 s1, 0, s0
	v_sub_u32_e32 v3, 0, v0
	v_ashrrev_i32_e32 v2, 31, v0
	v_mul_f32_e32 v1, 0x4f7ffffe, v1
	v_cvt_u32_f32_e32 v1, v1
	v_max_i32_e32 v0, v0, v3
	v_mul_lo_u32 v3, s1, v1
	v_mul_hi_u32 v3, v1, v3
	v_add_u32_e32 v1, v1, v3
	v_mul_hi_u32 v1, v0, v1
	v_mul_lo_u32 v1, v1, s0
	v_sub_u32_e32 v0, v0, v1
	v_subrev_u32_e32 v1, s0, v0
	v_cmp_le_u32_e32 vcc, s0, v0
	v_cndmask_b32_e32 v0, v0, v1, vcc
	v_subrev_u32_e32 v1, s0, v0
	v_cmp_le_u32_e32 vcc, s0, v0
	v_cndmask_b32_e32 v0, v0, v1, vcc
	v_xor_b32_e32 v0, v0, v2
	v_sub_u32_e32 v0, v0, v2
	v_cmp_eq_u32_e32 vcc, 0, v0
	s_and_saveexec_b64 s[0:1], vcc
	s_cbranch_execz .LBB1_12
; %bb.1:
	s_mov_b64 s[2:3], exec
	s_load_dwordx4 s[8:11], s[4:5], 0x0
	s_load_dwordx2 s[0:1], s[4:5], 0x10
	v_mbcnt_lo_u32_b32 v0, s2, 0
	v_mbcnt_hi_u32_b32 v0, s3, v0
	v_lshlrev_b32_e32 v4, 2, v0
	s_waitcnt lgkmcnt(0)
	global_load_dword v0, v4, s[10:11]
	global_load_dword v5, v4, s[8:9]
	s_bcnt1_i32_b64 s4, s[2:3]
	v_cvt_f32_ubyte0_e32 v1, s4
	v_rcp_iflag_f32_e32 v1, v1
	s_sub_i32 s5, 0, s4
	s_cmp_eq_u64 s[2:3], -1
	v_mul_f32_e32 v1, 0x4f7ffffe, v1
	v_cvt_u32_f32_e32 v1, v1
	v_mul_lo_u32 v2, s5, v1
	v_mul_hi_u32 v2, v1, v2
	v_add_u32_e32 v1, v1, v2
	s_waitcnt vmcnt(1)
	v_sub_u32_e32 v3, 0, v0
	v_ashrrev_i32_e32 v2, 31, v0
	v_max_i32_e32 v0, v0, v3
	v_mul_hi_u32 v1, v0, v1
	v_mul_lo_u32 v1, v1, s4
	v_sub_u32_e32 v0, v0, v1
	v_subrev_u32_e32 v1, s4, v0
	v_cmp_le_u32_e32 vcc, s4, v0
	v_cndmask_b32_e32 v0, v0, v1, vcc
	v_subrev_u32_e32 v1, s4, v0
	v_cmp_le_u32_e32 vcc, s4, v0
	v_cndmask_b32_e32 v0, v0, v1, vcc
	v_xor_b32_e32 v0, v0, v2
	v_sub_u32_e32 v6, v0, v2
	s_cbranch_scc1 .LBB1_11
; %bb.2:
	v_add_co_u32_e32 v7, vcc, 1, v6
	s_xor_b64 s[4:5], vcc, -1
                                        ; implicit-def: $vgpr2_vgpr3
                                        ; implicit-def: $vgpr0_vgpr1
	s_and_saveexec_b64 s[6:7], s[4:5]
	s_xor_b64 s[4:5], exec, s[6:7]
	s_cbranch_execz .LBB1_6
; %bb.3:
	v_cmp_gt_i32_e32 vcc, -1, v6
	v_pk_mov_b32 v[2:3], 0, 0
	v_pk_mov_b32 v[0:1], s[2:3], s[2:3] op_sel:[0,1]
	s_and_saveexec_b64 s[6:7], vcc
; %bb.4:
	s_brev_b64 s[8:9], s[2:3]
	v_not_b32_e32 v7, v6
	v_mov_b32_e32 v2, 63
	v_pk_mov_b32 v[0:1], s[8:9], s[8:9] op_sel:[0,1]
	v_mov_b32_e32 v3, 0
; %bb.5:
	s_or_b64 exec, exec, s[6:7]
.LBB1_6:
	s_andn2_saveexec_b64 s[4:5], s[4:5]
; %bb.7:
	s_and_b32 s2, s2, 1
	s_mov_b32 s3, 0
	v_pk_mov_b32 v[0:1], s[2:3], s[2:3] op_sel:[0,1]
	v_mov_b32_e32 v7, 1
	v_pk_mov_b32 v[2:3], 0, 0
; %bb.8:
	s_or_b64 exec, exec, s[4:5]
	v_lshlrev_b64 v[2:3], v2, -1
	v_and_b32_e32 v0, v2, v0
	v_and_b32_e32 v1, v3, v1
	v_bcnt_u32_b32 v2, v0, 0
	v_bcnt_u32_b32 v2, v1, v2
	v_cmp_le_u32_e32 vcc, v7, v2
	v_mov_b32_e32 v2, -1
	s_and_saveexec_b64 s[2:3], vcc
	s_cbranch_execz .LBB1_10
; %bb.9:
	v_bcnt_u32_b32 v2, v0, 0
	v_cmp_gt_u32_e32 vcc, v7, v2
	v_cndmask_b32_e32 v0, v0, v1, vcc
	v_cndmask_b32_e32 v1, 0, v2, vcc
	v_and_b32_e32 v3, 0xffff, v0
	v_sub_u32_e32 v1, v7, v1
	v_bcnt_u32_b32 v7, v3, 0
	v_cndmask_b32_e64 v2, 0, 1, vcc
	v_lshrrev_b32_e32 v0, 16, v0
	v_cmp_gt_i32_e32 vcc, v1, v7
	v_cndmask_b32_e32 v0, v3, v0, vcc
	v_cndmask_b32_e32 v3, 0, v7, vcc
	v_lshlrev_b32_e32 v2, 5, v2
	v_sub_u32_e32 v1, v1, v3
	v_cndmask_b32_e64 v3, 0, 1, vcc
	v_lshl_or_b32 v2, v3, 4, v2
	v_and_b32_e32 v3, 0xff, v0
	v_bcnt_u32_b32 v7, v3, 0
	v_lshrrev_b32_e32 v0, 8, v0
	v_cmp_gt_i32_e32 vcc, v1, v7
	v_cndmask_b32_e32 v0, v3, v0, vcc
	v_cndmask_b32_e32 v3, 0, v7, vcc
	v_and_b32_e32 v7, 15, v0
	v_sub_u32_e32 v1, v1, v3
	v_bcnt_u32_b32 v8, v7, 0
	v_cndmask_b32_e64 v3, 0, 1, vcc
	v_lshrrev_b32_e32 v0, 4, v0
	v_cmp_gt_i32_e32 vcc, v1, v8
	v_cndmask_b32_e32 v0, v7, v0, vcc
	v_cndmask_b32_e32 v7, 0, v8, vcc
	v_sub_u32_e32 v1, v1, v7
	v_cndmask_b32_e64 v7, 0, 1, vcc
	v_lshlrev_b32_e32 v3, 3, v3
	v_lshlrev_b32_e32 v7, 2, v7
	v_or3_b32 v2, v2, v3, v7
	v_and_b32_e32 v3, 3, v0
	v_bcnt_u32_b32 v3, v3, 0
	v_lshrrev_b32_e32 v7, 2, v0
	v_cmp_gt_i32_e32 vcc, v1, v3
	v_cndmask_b32_e32 v3, 0, v3, vcc
	v_cndmask_b32_e32 v0, v0, v7, vcc
	v_sub_u32_e32 v1, v1, v3
	v_and_b32_e32 v0, 1, v0
	v_cndmask_b32_e64 v3, 0, 1, vcc
	v_cmp_gt_i32_e32 vcc, v1, v0
	v_lshlrev_b32_e32 v3, 1, v3
	v_cndmask_b32_e64 v0, 0, 1, vcc
	v_or3_b32 v0, v2, v3, v0
	v_xor_b32_e32 v1, 63, v0
	v_cmp_gt_i32_e32 vcc, -1, v6
	v_cndmask_b32_e32 v2, v0, v1, vcc
.LBB1_10:
	s_or_b64 exec, exec, s[2:3]
	v_mov_b32_e32 v6, v2
.LBB1_11:
	v_mbcnt_lo_u32_b32 v0, -1, 0
	v_mbcnt_hi_u32_b32 v0, -1, v0
	v_and_b32_e32 v1, 63, v6
	v_and_or_b32 v0, v0, 64, v1
	v_lshlrev_b32_e32 v0, 2, v0
	s_waitcnt vmcnt(0)
	ds_bpermute_b32 v0, v0, v5
	s_waitcnt lgkmcnt(0)
	global_store_dword v4, v0, s[0:1]
.LBB1_12:
	s_endpgm
	.section	.rodata,"a",@progbits
	.p2align	6, 0x0
	.amdhsa_kernel _Z22kernel_shfl_any_to_anyPiS_S_i
		.amdhsa_group_segment_fixed_size 0
		.amdhsa_private_segment_fixed_size 0
		.amdhsa_kernarg_size 288
		.amdhsa_user_sgpr_count 6
		.amdhsa_user_sgpr_private_segment_buffer 1
		.amdhsa_user_sgpr_dispatch_ptr 0
		.amdhsa_user_sgpr_queue_ptr 0
		.amdhsa_user_sgpr_kernarg_segment_ptr 1
		.amdhsa_user_sgpr_dispatch_id 0
		.amdhsa_user_sgpr_flat_scratch_init 0
		.amdhsa_user_sgpr_kernarg_preload_length 0
		.amdhsa_user_sgpr_kernarg_preload_offset 0
		.amdhsa_user_sgpr_private_segment_size 0
		.amdhsa_uses_dynamic_stack 0
		.amdhsa_system_sgpr_private_segment_wavefront_offset 0
		.amdhsa_system_sgpr_workgroup_id_x 1
		.amdhsa_system_sgpr_workgroup_id_y 0
		.amdhsa_system_sgpr_workgroup_id_z 0
		.amdhsa_system_sgpr_workgroup_info 0
		.amdhsa_system_vgpr_workitem_id 0
		.amdhsa_next_free_vgpr 9
		.amdhsa_next_free_sgpr 12
		.amdhsa_accum_offset 12
		.amdhsa_reserve_vcc 1
		.amdhsa_reserve_flat_scratch 0
		.amdhsa_float_round_mode_32 0
		.amdhsa_float_round_mode_16_64 0
		.amdhsa_float_denorm_mode_32 3
		.amdhsa_float_denorm_mode_16_64 3
		.amdhsa_dx10_clamp 1
		.amdhsa_ieee_mode 1
		.amdhsa_fp16_overflow 0
		.amdhsa_tg_split 0
		.amdhsa_exception_fp_ieee_invalid_op 0
		.amdhsa_exception_fp_denorm_src 0
		.amdhsa_exception_fp_ieee_div_zero 0
		.amdhsa_exception_fp_ieee_overflow 0
		.amdhsa_exception_fp_ieee_underflow 0
		.amdhsa_exception_fp_ieee_inexact 0
		.amdhsa_exception_int_div_zero 0
	.end_amdhsa_kernel
	.text
.Lfunc_end1:
	.size	_Z22kernel_shfl_any_to_anyPiS_S_i, .Lfunc_end1-_Z22kernel_shfl_any_to_anyPiS_S_i
                                        ; -- End function
	.section	.AMDGPU.csdata,"",@progbits
; Kernel info:
; codeLenInByte = 836
; NumSgprs: 16
; NumVgprs: 9
; NumAgprs: 0
; TotalNumVgprs: 9
; ScratchSize: 0
; MemoryBound: 0
; FloatMode: 240
; IeeeMode: 1
; LDSByteSize: 0 bytes/workgroup (compile time only)
; SGPRBlocks: 1
; VGPRBlocks: 1
; NumSGPRsForWavesPerEU: 16
; NumVGPRsForWavesPerEU: 9
; AccumOffset: 12
; Occupancy: 8
; WaveLimiterHint : 0
; COMPUTE_PGM_RSRC2:SCRATCH_EN: 0
; COMPUTE_PGM_RSRC2:USER_SGPR: 6
; COMPUTE_PGM_RSRC2:TRAP_HANDLER: 0
; COMPUTE_PGM_RSRC2:TGID_X_EN: 1
; COMPUTE_PGM_RSRC2:TGID_Y_EN: 0
; COMPUTE_PGM_RSRC2:TGID_Z_EN: 0
; COMPUTE_PGM_RSRC2:TIDIG_COMP_CNT: 0
; COMPUTE_PGM_RSRC3_GFX90A:ACCUM_OFFSET: 2
; COMPUTE_PGM_RSRC3_GFX90A:TG_SPLIT: 0
	.text
	.protected	_Z10filter_arrPiS_PKii  ; -- Begin function _Z10filter_arrPiS_PKii
	.globl	_Z10filter_arrPiS_PKii
	.p2align	8
	.type	_Z10filter_arrPiS_PKii,@function
_Z10filter_arrPiS_PKii:                 ; @_Z10filter_arrPiS_PKii
; %bb.0:
	s_load_dword s0, s[4:5], 0x2c
	s_load_dword s20, s[4:5], 0x18
	s_add_u32 s8, s4, 32
	s_addc_u32 s9, s5, 0
	s_waitcnt lgkmcnt(0)
	s_and_b32 s10, s0, 0xffff
	s_mul_i32 s6, s6, s10
	v_add_u32_e32 v0, s6, v0
	v_cmp_gt_i32_e32 vcc, s20, v0
	s_and_saveexec_b64 s[0:1], vcc
	s_cbranch_execz .LBB2_17
; %bb.1:
	s_load_dword s21, s[8:9], 0x0
	s_load_dwordx2 s[6:7], s[4:5], 0x10
	s_load_dwordx4 s[0:3], s[4:5], 0x0
	v_mbcnt_lo_u32_b32 v1, -1, 0
	v_mbcnt_hi_u32_b32 v1, -1, v1
	s_mov_b64 s[4:5], 0
	s_waitcnt lgkmcnt(0)
	s_mul_i32 s21, s21, s10
	v_mov_b32_e32 v2, s7
	s_mov_b32 s9, 0
	v_mov_b32_e32 v3, 0
	v_and_b32_e32 v4, 64, v1
	s_branch .LBB2_4
.LBB2_2:                                ;   in Loop: Header=BB2_4 Depth=1
	v_add_lshl_u32 v7, v4, v7, 2
	ds_bpermute_b32 v6, v7, v6
	v_mov_b32_e32 v8, s1
	s_waitcnt lgkmcnt(0)
	v_add_u32_e32 v6, v6, v5
	v_ashrrev_i32_e32 v7, 31, v6
	v_lshlrev_b64 v[6:7], 2, v[6:7]
	v_add_co_u32_e32 v6, vcc, s0, v6
	v_addc_co_u32_e32 v7, vcc, v8, v7, vcc
	global_store_dword v[6:7], v1, off
.LBB2_3:                                ;   in Loop: Header=BB2_4 Depth=1
	s_or_b64 exec, exec, s[10:11]
	v_add_u32_e32 v0, s21, v0
	v_cmp_le_i32_e32 vcc, s20, v0
	s_or_b64 s[4:5], vcc, s[4:5]
	s_andn2_b64 exec, exec, s[4:5]
	s_cbranch_execz .LBB2_17
.LBB2_4:                                ; =>This Inner Loop Header: Depth=1
	v_ashrrev_i32_e32 v1, 31, v0
	v_lshlrev_b64 v[6:7], 2, v[0:1]
	v_add_co_u32_e32 v6, vcc, s6, v6
	v_addc_co_u32_e32 v7, vcc, v2, v7, vcc
	global_load_dword v1, v[6:7], off
	s_waitcnt vmcnt(0)
	v_cmp_lt_i32_e32 vcc, 0, v1
	s_and_saveexec_b64 s[10:11], vcc
	s_cbranch_execz .LBB2_3
; %bb.5:                                ;   in Loop: Header=BB2_4 Depth=1
	s_mov_b64 s[12:13], exec
	v_mbcnt_lo_u32_b32 v5, s12, 0
	v_mbcnt_hi_u32_b32 v5, s13, v5
	v_mov_b32_e32 v6, 0
	v_cmp_eq_u32_e32 vcc, 0, v5
	s_and_saveexec_b64 s[14:15], vcc
	s_cbranch_execz .LBB2_9
; %bb.6:                                ;   in Loop: Header=BB2_4 Depth=1
	s_mov_b64 s[18:19], exec
	v_mbcnt_lo_u32_b32 v6, s18, 0
	v_mbcnt_hi_u32_b32 v6, s19, v6
	s_bcnt1_i32_b64 s7, s[12:13]
	v_cmp_eq_u32_e32 vcc, 0, v6
                                        ; implicit-def: $vgpr7
	s_and_saveexec_b64 s[16:17], vcc
	s_cbranch_execz .LBB2_8
; %bb.7:                                ;   in Loop: Header=BB2_4 Depth=1
	s_bcnt1_i32_b64 s8, s[18:19]
	s_mul_i32 s8, s7, s8
	v_mov_b32_e32 v7, s8
	global_atomic_add v7, v3, v7, s[2:3] glc
.LBB2_8:                                ;   in Loop: Header=BB2_4 Depth=1
	s_or_b64 exec, exec, s[16:17]
	s_waitcnt vmcnt(0)
	v_readfirstlane_b32 s8, v7
	v_mov_b32_e32 v7, s8
	v_mad_u32_u24 v6, s7, v6, v7
.LBB2_9:                                ;   in Loop: Header=BB2_4 Depth=1
	s_or_b64 exec, exec, s[14:15]
	v_cmp_lt_i64_e64 s[14:15], s[12:13], 0
	s_mov_b32 s7, s13
	s_and_b64 vcc, exec, s[14:15]
	s_cbranch_vccnz .LBB2_13
; %bb.10:                               ;   in Loop: Header=BB2_4 Depth=1
	s_cmp_eq_u64 s[12:13], 0
	s_mov_b64 s[14:15], -1
                                        ; implicit-def: $sgpr8
	s_cbranch_scc0 .LBB2_12
; %bb.11:                               ;   in Loop: Header=BB2_4 Depth=1
	s_mov_b64 s[14:15], 0
	s_mov_b32 s8, 63
.LBB2_12:                               ;   in Loop: Header=BB2_4 Depth=1
	s_branch .LBB2_15
.LBB2_13:                               ;   in Loop: Header=BB2_4 Depth=1
	s_mov_b64 s[14:15], 0
                                        ; implicit-def: $sgpr8
	s_cbranch_execz .LBB2_15
; %bb.14:                               ;   in Loop: Header=BB2_4 Depth=1
	s_cmp_lg_u64 s[12:13], -1
	s_mov_b32 s8, 0
	s_cselect_b64 s[14:15], -1, 0
.LBB2_15:                               ;   in Loop: Header=BB2_4 Depth=1
	s_andn2_b64 vcc, exec, s[14:15]
	v_mov_b32_e32 v7, s8
	s_cbranch_vccnz .LBB2_2
; %bb.16:                               ;   in Loop: Header=BB2_4 Depth=1
	s_mov_b32 s13, s9
	s_cmp_eq_u64 s[12:13], 0
	s_cselect_b64 s[14:15], -1, 0
	v_cndmask_b32_e64 v7, 0, 1, s[14:15]
	s_and_b64 s[14:15], s[14:15], exec
	s_cselect_b32 s7, s7, s12
	s_and_b32 s8, s7, 0xffff
	s_lshr_b32 s7, s7, 16
	s_cmp_eq_u64 s[8:9], 0
	s_cselect_b64 s[12:13], -1, 0
	v_cndmask_b32_e64 v8, 0, 1, s[12:13]
	s_and_b64 s[12:13], s[12:13], exec
	s_cselect_b32 s7, s7, s8
	s_and_b32 s8, s7, 0xff
	s_lshr_b32 s7, s7, 8
	s_cmp_eq_u64 s[8:9], 0
	v_lshlrev_b32_e32 v7, 5, v7
	v_lshlrev_b32_e32 v8, 4, v8
	s_cselect_b64 s[12:13], -1, 0
	v_or_b32_e32 v7, v8, v7
	v_cndmask_b32_e64 v8, 0, 1, s[12:13]
	s_and_b64 s[12:13], s[12:13], exec
	s_cselect_b32 s7, s7, s8
	s_and_b32 s8, s7, 15
	s_lshr_b32 s7, s7, 4
	s_cmp_eq_u64 s[8:9], 0
	v_lshlrev_b32_e32 v8, 3, v8
	s_cselect_b64 s[12:13], -1, 0
	v_or_b32_e32 v7, v7, v8
	v_cndmask_b32_e64 v8, 0, 1, s[12:13]
	s_and_b64 s[12:13], s[12:13], exec
	s_cselect_b32 s7, s7, s8
	s_and_b32 s8, s7, 3
	s_lshr_b32 s14, s7, 2
	s_cmp_eq_u64 s[8:9], 0
	v_lshlrev_b32_e32 v8, 2, v8
	s_cselect_b64 s[12:13], -1, 0
	v_or_b32_e32 v7, v7, v8
	v_cndmask_b32_e64 v8, 0, 1, s[12:13]
	s_and_b64 s[12:13], s[12:13], exec
	s_cselect_b32 s7, s14, s7
	v_lshlrev_b32_e32 v8, 1, v8
	v_or_b32_e32 v7, v7, v8
	s_and_b32 s7, s7, 1
	v_or_b32_e32 v7, s7, v7
	v_xor_b32_e32 v7, 1, v7
	s_branch .LBB2_2
.LBB2_17:
	s_endpgm
	.section	.rodata,"a",@progbits
	.p2align	6, 0x0
	.amdhsa_kernel _Z10filter_arrPiS_PKii
		.amdhsa_group_segment_fixed_size 0
		.amdhsa_private_segment_fixed_size 0
		.amdhsa_kernarg_size 288
		.amdhsa_user_sgpr_count 6
		.amdhsa_user_sgpr_private_segment_buffer 1
		.amdhsa_user_sgpr_dispatch_ptr 0
		.amdhsa_user_sgpr_queue_ptr 0
		.amdhsa_user_sgpr_kernarg_segment_ptr 1
		.amdhsa_user_sgpr_dispatch_id 0
		.amdhsa_user_sgpr_flat_scratch_init 0
		.amdhsa_user_sgpr_kernarg_preload_length 0
		.amdhsa_user_sgpr_kernarg_preload_offset 0
		.amdhsa_user_sgpr_private_segment_size 0
		.amdhsa_uses_dynamic_stack 0
		.amdhsa_system_sgpr_private_segment_wavefront_offset 0
		.amdhsa_system_sgpr_workgroup_id_x 1
		.amdhsa_system_sgpr_workgroup_id_y 0
		.amdhsa_system_sgpr_workgroup_id_z 0
		.amdhsa_system_sgpr_workgroup_info 0
		.amdhsa_system_vgpr_workitem_id 0
		.amdhsa_next_free_vgpr 9
		.amdhsa_next_free_sgpr 22
		.amdhsa_accum_offset 12
		.amdhsa_reserve_vcc 1
		.amdhsa_reserve_flat_scratch 0
		.amdhsa_float_round_mode_32 0
		.amdhsa_float_round_mode_16_64 0
		.amdhsa_float_denorm_mode_32 3
		.amdhsa_float_denorm_mode_16_64 3
		.amdhsa_dx10_clamp 1
		.amdhsa_ieee_mode 1
		.amdhsa_fp16_overflow 0
		.amdhsa_tg_split 0
		.amdhsa_exception_fp_ieee_invalid_op 0
		.amdhsa_exception_fp_denorm_src 0
		.amdhsa_exception_fp_ieee_div_zero 0
		.amdhsa_exception_fp_ieee_overflow 0
		.amdhsa_exception_fp_ieee_underflow 0
		.amdhsa_exception_fp_ieee_inexact 0
		.amdhsa_exception_int_div_zero 0
	.end_amdhsa_kernel
	.text
.Lfunc_end2:
	.size	_Z10filter_arrPiS_PKii, .Lfunc_end2-_Z10filter_arrPiS_PKii
                                        ; -- End function
	.section	.AMDGPU.csdata,"",@progbits
; Kernel info:
; codeLenInByte = 668
; NumSgprs: 26
; NumVgprs: 9
; NumAgprs: 0
; TotalNumVgprs: 9
; ScratchSize: 0
; MemoryBound: 0
; FloatMode: 240
; IeeeMode: 1
; LDSByteSize: 0 bytes/workgroup (compile time only)
; SGPRBlocks: 3
; VGPRBlocks: 1
; NumSGPRsForWavesPerEU: 26
; NumVGPRsForWavesPerEU: 9
; AccumOffset: 12
; Occupancy: 8
; WaveLimiterHint : 0
; COMPUTE_PGM_RSRC2:SCRATCH_EN: 0
; COMPUTE_PGM_RSRC2:USER_SGPR: 6
; COMPUTE_PGM_RSRC2:TRAP_HANDLER: 0
; COMPUTE_PGM_RSRC2:TGID_X_EN: 1
; COMPUTE_PGM_RSRC2:TGID_Y_EN: 0
; COMPUTE_PGM_RSRC2:TGID_Z_EN: 0
; COMPUTE_PGM_RSRC2:TIDIG_COMP_CNT: 0
; COMPUTE_PGM_RSRC3_GFX90A:ACCUM_OFFSET: 2
; COMPUTE_PGM_RSRC3_GFX90A:TG_SPLIT: 0
	.text
	.protected	_Z35kernel_cg_coalesced_group_partitionjPibS_i ; -- Begin function _Z35kernel_cg_coalesced_group_partitionjPibS_i
	.globl	_Z35kernel_cg_coalesced_group_partitionjPibS_i
	.p2align	8
	.type	_Z35kernel_cg_coalesced_group_partitionjPibS_i,@function
_Z35kernel_cg_coalesced_group_partitionjPibS_i: ; @_Z35kernel_cg_coalesced_group_partitionjPibS_i
; %bb.0:
	s_load_dword s0, s[4:5], 0x20
	s_load_dword s1, s[4:5], 0x34
	s_add_u32 s8, s4, 40
	s_addc_u32 s9, s5, 0
	s_mov_b32 s11, 0
	s_waitcnt lgkmcnt(0)
	s_abs_i32 s0, s0
	v_cvt_f32_u32_e32 v1, s0
	s_and_b32 s1, s1, 0xffff
	s_mul_i32 s6, s6, s1
	v_add_u32_e32 v0, s6, v0
	v_rcp_iflag_f32_e32 v1, v1
	s_sub_i32 s1, 0, s0
	v_sub_u32_e32 v3, 0, v0
	v_ashrrev_i32_e32 v2, 31, v0
	v_mul_f32_e32 v1, 0x4f7ffffe, v1
	v_cvt_u32_f32_e32 v1, v1
	v_max_i32_e32 v0, v0, v3
	v_mul_lo_u32 v3, s1, v1
	v_mul_hi_u32 v3, v1, v3
	v_add_u32_e32 v1, v1, v3
	v_mul_hi_u32 v1, v0, v1
	v_mul_lo_u32 v1, v1, s0
	v_sub_u32_e32 v0, v0, v1
	v_subrev_u32_e32 v1, s0, v0
	v_cmp_le_u32_e32 vcc, s0, v0
	v_cndmask_b32_e32 v0, v0, v1, vcc
	v_subrev_u32_e32 v1, s0, v0
	v_cmp_le_u32_e32 vcc, s0, v0
	v_cndmask_b32_e32 v0, v0, v1, vcc
	v_xor_b32_e32 v0, v0, v2
	v_sub_u32_e32 v0, v0, v2
	v_cmp_eq_u32_e32 vcc, 0, v0
	s_and_saveexec_b64 s[0:1], vcc
	s_cbranch_execz .LBB3_643
; %bb.1:
	s_load_dword s6, s[4:5], 0x10
	s_load_dwordx2 s[0:1], s[4:5], 0x18
	s_mov_b64 s[12:13], exec
	s_mov_b64 s[2:3], src_shared_base
	s_bcnt1_i32_b64 s10, s[12:13]
	s_waitcnt lgkmcnt(0)
	s_and_b32 s2, 1, s6
	s_cmp_lg_u32 0, -1
	s_cselect_b32 s6, 0, 0
	s_cselect_b32 s3, s3, 0
	s_cmp_eq_u32 s2, 1
	v_mbcnt_lo_u32_b32 v0, s12, 0
	s_cselect_b32 s31, s1, s3
	s_cselect_b32 s33, s0, s6
	v_mbcnt_hi_u32_b32 v36, s13, v0
	v_cmp_lt_u64_e64 s[0:1], s[10:11], 2
	s_and_b64 vcc, exec, s[0:1]
	v_mov_b32_e32 v35, v36
	s_cbranch_vccnz .LBB3_7
; %bb.2:
	v_lshlrev_b32_e32 v0, 2, v36
	v_mov_b32_e32 v1, s31
	v_add_co_u32_e32 v0, vcc, s33, v0
	v_addc_co_u32_e32 v1, vcc, 0, v1, vcc
	s_mov_b32 s1, 0
	s_mov_b32 s6, s10
	v_mov_b32_e32 v35, v36
.LBB3_3:                                ; =>This Inner Loop Header: Depth=1
	s_lshr_b32 s0, s6, 1
	v_cmp_gt_i32_e32 vcc, s0, v36
	flat_store_dword v[0:1], v35
	s_waitcnt vmcnt(0) lgkmcnt(0)
	buffer_wbinvl1_vol
	s_and_saveexec_b64 s[2:3], vcc
	s_cbranch_execz .LBB3_5
; %bb.4:                                ;   in Loop: Header=BB3_3 Depth=1
	s_lshl_b64 s[14:15], s[0:1], 2
	v_mov_b32_e32 v3, s15
	v_add_co_u32_e32 v2, vcc, s14, v0
	v_addc_co_u32_e32 v3, vcc, v1, v3, vcc
	flat_load_dword v2, v[2:3]
	s_waitcnt vmcnt(0) lgkmcnt(0)
	v_add_u32_e32 v35, v2, v35
.LBB3_5:                                ;   in Loop: Header=BB3_3 Depth=1
	s_or_b64 exec, exec, s[2:3]
	s_cmp_gt_u32 s6, 3
	buffer_wbinvl1_vol
	s_cbranch_scc0 .LBB3_7
; %bb.6:                                ;   in Loop: Header=BB3_3 Depth=1
	s_mov_b32 s6, s0
	s_branch .LBB3_3
.LBB3_7:
	s_load_dword s30, s[4:5], 0x0
	v_cmp_eq_u32_e64 s[0:1], 0, v36
	s_and_saveexec_b64 s[6:7], s[0:1]
	s_cbranch_execz .LBB3_382
; %bb.8:
	s_load_dwordx2 s[14:15], s[8:9], 0x50
	v_mbcnt_lo_u32_b32 v0, -1, 0
	v_mbcnt_hi_u32_b32 v34, -1, v0
	v_readfirstlane_b32 s2, v34
	v_cmp_eq_u32_e64 s[2:3], s2, v34
	v_pk_mov_b32 v[6:7], 0, 0
	s_and_saveexec_b64 s[16:17], s[2:3]
	s_cbranch_execz .LBB3_14
; %bb.9:
	v_mov_b32_e32 v0, 0
	s_waitcnt lgkmcnt(0)
	global_load_dwordx2 v[4:5], v0, s[14:15] offset:24 glc
	s_waitcnt vmcnt(0)
	buffer_invl2
	buffer_wbinvl1_vol
	global_load_dwordx2 v[2:3], v0, s[14:15] offset:40
	global_load_dwordx2 v[6:7], v0, s[14:15]
	s_waitcnt vmcnt(1)
	v_and_b32_e32 v1, v2, v4
	v_and_b32_e32 v2, v3, v5
	v_mul_lo_u32 v2, v2, 24
	v_mul_hi_u32 v3, v1, 24
	v_mul_lo_u32 v1, v1, 24
	v_add_u32_e32 v3, v3, v2
	s_waitcnt vmcnt(0)
	v_add_co_u32_e32 v2, vcc, v6, v1
	v_addc_co_u32_e32 v3, vcc, v7, v3, vcc
	global_load_dwordx2 v[2:3], v[2:3], off glc
	s_waitcnt vmcnt(0)
	global_atomic_cmpswap_x2 v[6:7], v0, v[2:5], s[14:15] offset:24 glc
	s_waitcnt vmcnt(0)
	buffer_invl2
	buffer_wbinvl1_vol
	v_cmp_ne_u64_e32 vcc, v[6:7], v[4:5]
	s_and_saveexec_b64 s[18:19], vcc
	s_cbranch_execz .LBB3_13
; %bb.10:
	s_mov_b64 s[20:21], 0
.LBB3_11:                               ; =>This Inner Loop Header: Depth=1
	s_sleep 1
	global_load_dwordx2 v[2:3], v0, s[14:15] offset:40
	global_load_dwordx2 v[8:9], v0, s[14:15]
	v_pk_mov_b32 v[4:5], v[6:7], v[6:7] op_sel:[0,1]
	s_waitcnt vmcnt(1)
	v_and_b32_e32 v2, v2, v4
	v_and_b32_e32 v1, v3, v5
	s_waitcnt vmcnt(0)
	v_mad_u64_u32 v[2:3], s[22:23], v2, 24, v[8:9]
	v_mov_b32_e32 v6, v3
	v_mad_u64_u32 v[6:7], s[22:23], v1, 24, v[6:7]
	v_mov_b32_e32 v3, v6
	global_load_dwordx2 v[2:3], v[2:3], off glc
	s_waitcnt vmcnt(0)
	global_atomic_cmpswap_x2 v[6:7], v0, v[2:5], s[14:15] offset:24 glc
	s_waitcnt vmcnt(0)
	buffer_invl2
	buffer_wbinvl1_vol
	v_cmp_eq_u64_e32 vcc, v[6:7], v[4:5]
	s_or_b64 s[20:21], vcc, s[20:21]
	s_andn2_b64 exec, exec, s[20:21]
	s_cbranch_execnz .LBB3_11
; %bb.12:
	s_or_b64 exec, exec, s[20:21]
.LBB3_13:
	s_or_b64 exec, exec, s[18:19]
.LBB3_14:
	s_or_b64 exec, exec, s[16:17]
	v_mov_b32_e32 v5, 0
	s_waitcnt lgkmcnt(0)
	global_load_dwordx2 v[8:9], v5, s[14:15] offset:40
	global_load_dwordx4 v[0:3], v5, s[14:15]
	v_readfirstlane_b32 s16, v6
	v_readfirstlane_b32 s17, v7
	s_mov_b64 s[18:19], exec
	s_waitcnt vmcnt(1)
	v_readfirstlane_b32 s20, v8
	v_readfirstlane_b32 s21, v9
	s_and_b64 s[20:21], s[16:17], s[20:21]
	s_mul_i32 s11, s21, 24
	s_mul_hi_u32 s22, s20, 24
	s_mul_i32 s23, s20, 24
	s_add_i32 s11, s22, s11
	v_mov_b32_e32 v4, s11
	s_waitcnt vmcnt(0)
	v_add_co_u32_e32 v8, vcc, s23, v0
	v_addc_co_u32_e32 v9, vcc, v1, v4, vcc
	s_and_saveexec_b64 s[22:23], s[2:3]
	s_cbranch_execz .LBB3_16
; %bb.15:
	v_pk_mov_b32 v[10:11], s[18:19], s[18:19] op_sel:[0,1]
	v_mov_b32_e32 v12, 2
	v_mov_b32_e32 v13, 1
	global_store_dwordx4 v[8:9], v[10:13], off offset:8
.LBB3_16:
	s_or_b64 exec, exec, s[22:23]
	s_lshl_b64 s[18:19], s[20:21], 12
	v_mov_b32_e32 v4, s19
	v_add_co_u32_e32 v2, vcc, s18, v2
	v_addc_co_u32_e32 v3, vcc, v3, v4, vcc
	s_mov_b32 s20, 0
	v_lshlrev_b32_e32 v29, 6, v34
	v_add_co_u32_e32 v10, vcc, v2, v29
	v_mov_b32_e32 v4, 33
	v_mov_b32_e32 v6, v5
	v_mov_b32_e32 v7, v5
	v_readfirstlane_b32 s18, v2
	v_readfirstlane_b32 s19, v3
	s_mov_b32 s21, s20
	v_addc_co_u32_e32 v11, vcc, 0, v3, vcc
	s_mov_b32 s22, s20
	s_mov_b32 s23, s20
	s_nop 0
	global_store_dwordx4 v29, v[4:7], s[18:19]
	v_pk_mov_b32 v[2:3], s[20:21], s[20:21] op_sel:[0,1]
	v_pk_mov_b32 v[4:5], s[22:23], s[22:23] op_sel:[0,1]
	global_store_dwordx4 v29, v[2:5], s[18:19] offset:16
	global_store_dwordx4 v29, v[2:5], s[18:19] offset:32
	;; [unrolled: 1-line block ×3, first 2 shown]
	s_and_saveexec_b64 s[18:19], s[2:3]
	s_cbranch_execz .LBB3_24
; %bb.17:
	v_mov_b32_e32 v6, 0
	global_load_dwordx2 v[14:15], v6, s[14:15] offset:32 glc
	global_load_dwordx2 v[2:3], v6, s[14:15] offset:40
	v_mov_b32_e32 v12, s16
	v_mov_b32_e32 v13, s17
	s_waitcnt vmcnt(0)
	v_and_b32_e32 v2, s16, v2
	v_and_b32_e32 v3, s17, v3
	v_mul_lo_u32 v3, v3, 24
	v_mul_hi_u32 v4, v2, 24
	v_mul_lo_u32 v2, v2, 24
	v_add_u32_e32 v3, v4, v3
	v_add_co_u32_e32 v4, vcc, v0, v2
	v_addc_co_u32_e32 v5, vcc, v1, v3, vcc
	global_store_dwordx2 v[4:5], v[14:15], off
	buffer_wbl2
	s_waitcnt vmcnt(0)
	global_atomic_cmpswap_x2 v[2:3], v6, v[12:15], s[14:15] offset:32 glc
	s_waitcnt vmcnt(0)
	v_cmp_ne_u64_e32 vcc, v[2:3], v[14:15]
	s_and_saveexec_b64 s[20:21], vcc
	s_cbranch_execz .LBB3_20
; %bb.18:
	s_mov_b64 s[22:23], 0
.LBB3_19:                               ; =>This Inner Loop Header: Depth=1
	s_sleep 1
	global_store_dwordx2 v[4:5], v[2:3], off
	v_mov_b32_e32 v0, s16
	v_mov_b32_e32 v1, s17
	buffer_wbl2
	s_waitcnt vmcnt(0)
	global_atomic_cmpswap_x2 v[0:1], v6, v[0:3], s[14:15] offset:32 glc
	s_waitcnt vmcnt(0)
	v_cmp_eq_u64_e32 vcc, v[0:1], v[2:3]
	s_or_b64 s[22:23], vcc, s[22:23]
	v_pk_mov_b32 v[2:3], v[0:1], v[0:1] op_sel:[0,1]
	s_andn2_b64 exec, exec, s[22:23]
	s_cbranch_execnz .LBB3_19
.LBB3_20:
	s_or_b64 exec, exec, s[20:21]
	v_mov_b32_e32 v3, 0
	global_load_dwordx2 v[0:1], v3, s[14:15] offset:16
	s_mov_b64 s[20:21], exec
	v_mbcnt_lo_u32_b32 v2, s20, 0
	v_mbcnt_hi_u32_b32 v2, s21, v2
	v_cmp_eq_u32_e32 vcc, 0, v2
	s_and_saveexec_b64 s[22:23], vcc
	s_cbranch_execz .LBB3_22
; %bb.21:
	s_bcnt1_i32_b64 s11, s[20:21]
	v_mov_b32_e32 v2, s11
	buffer_wbl2
	s_waitcnt vmcnt(0)
	global_atomic_add_x2 v[0:1], v[2:3], off offset:8
.LBB3_22:
	s_or_b64 exec, exec, s[22:23]
	s_waitcnt vmcnt(0)
	global_load_dwordx2 v[2:3], v[0:1], off offset:16
	s_waitcnt vmcnt(0)
	v_cmp_eq_u64_e32 vcc, 0, v[2:3]
	s_cbranch_vccnz .LBB3_24
; %bb.23:
	global_load_dword v0, v[0:1], off offset:24
	v_mov_b32_e32 v1, 0
	buffer_wbl2
	s_waitcnt vmcnt(0)
	global_store_dwordx2 v[2:3], v[0:1], off
	v_and_b32_e32 v0, 0xffffff, v0
	v_readfirstlane_b32 m0, v0
	s_sendmsg sendmsg(MSG_INTERRUPT)
.LBB3_24:
	s_or_b64 exec, exec, s[18:19]
	s_branch .LBB3_28
.LBB3_25:                               ;   in Loop: Header=BB3_28 Depth=1
	s_or_b64 exec, exec, s[18:19]
	v_readfirstlane_b32 s11, v0
	s_cmp_eq_u32 s11, 0
	s_cbranch_scc1 .LBB3_27
; %bb.26:                               ;   in Loop: Header=BB3_28 Depth=1
	s_sleep 1
	s_cbranch_execnz .LBB3_28
	s_branch .LBB3_30
.LBB3_27:
	s_branch .LBB3_30
.LBB3_28:                               ; =>This Inner Loop Header: Depth=1
	v_mov_b32_e32 v0, 1
	s_and_saveexec_b64 s[18:19], s[2:3]
	s_cbranch_execz .LBB3_25
; %bb.29:                               ;   in Loop: Header=BB3_28 Depth=1
	global_load_dword v0, v[8:9], off offset:20 glc
	s_waitcnt vmcnt(0)
	buffer_invl2
	buffer_wbinvl1_vol
	v_and_b32_e32 v0, 1, v0
	s_branch .LBB3_25
.LBB3_30:
	global_load_dwordx2 v[0:1], v[10:11], off
	s_and_saveexec_b64 s[18:19], s[2:3]
	s_cbranch_execz .LBB3_33
; %bb.31:
	v_mov_b32_e32 v8, 0
	global_load_dwordx2 v[6:7], v8, s[14:15] offset:40
	global_load_dwordx2 v[10:11], v8, s[14:15] offset:24 glc
	global_load_dwordx2 v[12:13], v8, s[14:15]
	v_mov_b32_e32 v3, s17
	s_mov_b64 s[2:3], 0
	s_waitcnt vmcnt(2)
	v_add_co_u32_e32 v5, vcc, 1, v6
	v_addc_co_u32_e32 v9, vcc, 0, v7, vcc
	v_add_co_u32_e32 v2, vcc, s16, v5
	v_addc_co_u32_e32 v3, vcc, v9, v3, vcc
	v_cmp_eq_u64_e32 vcc, 0, v[2:3]
	v_cndmask_b32_e32 v3, v3, v9, vcc
	v_cndmask_b32_e32 v2, v2, v5, vcc
	v_and_b32_e32 v5, v3, v7
	v_and_b32_e32 v6, v2, v6
	v_mul_lo_u32 v5, v5, 24
	v_mul_hi_u32 v7, v6, 24
	v_mul_lo_u32 v6, v6, 24
	v_add_u32_e32 v5, v7, v5
	s_waitcnt vmcnt(0)
	v_add_co_u32_e32 v6, vcc, v12, v6
	v_addc_co_u32_e32 v7, vcc, v13, v5, vcc
	v_mov_b32_e32 v4, v10
	global_store_dwordx2 v[6:7], v[10:11], off
	v_mov_b32_e32 v5, v11
	buffer_wbl2
	s_waitcnt vmcnt(0)
	global_atomic_cmpswap_x2 v[4:5], v8, v[2:5], s[14:15] offset:24 glc
	s_waitcnt vmcnt(0)
	v_cmp_ne_u64_e32 vcc, v[4:5], v[10:11]
	s_and_b64 exec, exec, vcc
	s_cbranch_execz .LBB3_33
.LBB3_32:                               ; =>This Inner Loop Header: Depth=1
	s_sleep 1
	global_store_dwordx2 v[6:7], v[4:5], off
	buffer_wbl2
	s_waitcnt vmcnt(0)
	global_atomic_cmpswap_x2 v[10:11], v8, v[2:5], s[14:15] offset:24 glc
	s_waitcnt vmcnt(0)
	v_cmp_eq_u64_e32 vcc, v[10:11], v[4:5]
	s_or_b64 s[2:3], vcc, s[2:3]
	v_pk_mov_b32 v[4:5], v[10:11], v[10:11] op_sel:[0,1]
	s_andn2_b64 exec, exec, s[2:3]
	s_cbranch_execnz .LBB3_32
.LBB3_33:
	s_or_b64 exec, exec, s[18:19]
	s_getpc_b64 s[16:17]
	s_add_u32 s16, s16, .str@rel32@lo+4
	s_addc_u32 s17, s17, .str@rel32@hi+12
	s_cmp_lg_u64 s[16:17], 0
	s_cbranch_scc0 .LBB3_118
; %bb.34:
	s_waitcnt vmcnt(0)
	v_and_b32_e32 v28, 2, v0
	v_mov_b32_e32 v31, 0
	v_and_b32_e32 v2, -3, v0
	v_mov_b32_e32 v3, v1
	s_mov_b64 s[18:19], 51
	v_mov_b32_e32 v6, 2
	v_mov_b32_e32 v7, 1
	s_branch .LBB3_36
.LBB3_35:                               ;   in Loop: Header=BB3_36 Depth=1
	s_or_b64 exec, exec, s[24:25]
	s_sub_u32 s18, s18, s20
	s_subb_u32 s19, s19, s21
	s_add_u32 s16, s16, s20
	s_addc_u32 s17, s17, s21
	s_cmp_lg_u64 s[18:19], 0
	s_cbranch_scc0 .LBB3_117
.LBB3_36:                               ; =>This Loop Header: Depth=1
                                        ;     Child Loop BB3_39 Depth 2
                                        ;     Child Loop BB3_46 Depth 2
	;; [unrolled: 1-line block ×11, first 2 shown]
	v_cmp_lt_u64_e64 s[2:3], s[18:19], 56
	s_and_b64 s[2:3], s[2:3], exec
	v_cmp_gt_u64_e64 s[2:3], s[18:19], 7
	s_cselect_b32 s21, s19, 0
	s_cselect_b32 s20, s18, 56
	s_and_b64 vcc, exec, s[2:3]
	s_cbranch_vccnz .LBB3_41
; %bb.37:                               ;   in Loop: Header=BB3_36 Depth=1
	s_mov_b64 s[2:3], 0
	s_cmp_eq_u64 s[18:19], 0
	v_pk_mov_b32 v[10:11], 0, 0
	s_cbranch_scc1 .LBB3_40
; %bb.38:                               ;   in Loop: Header=BB3_36 Depth=1
	s_lshl_b64 s[22:23], s[20:21], 3
	s_mov_b64 s[24:25], 0
	v_pk_mov_b32 v[10:11], 0, 0
	s_mov_b64 s[26:27], s[16:17]
.LBB3_39:                               ;   Parent Loop BB3_36 Depth=1
                                        ; =>  This Inner Loop Header: Depth=2
	global_load_ubyte v4, v31, s[26:27]
	s_waitcnt vmcnt(0)
	v_and_b32_e32 v30, 0xffff, v4
	v_lshlrev_b64 v[4:5], s24, v[30:31]
	s_add_u32 s24, s24, 8
	s_addc_u32 s25, s25, 0
	s_add_u32 s26, s26, 1
	s_addc_u32 s27, s27, 0
	v_or_b32_e32 v10, v4, v10
	s_cmp_lg_u32 s22, s24
	v_or_b32_e32 v11, v5, v11
	s_cbranch_scc1 .LBB3_39
.LBB3_40:                               ;   in Loop: Header=BB3_36 Depth=1
	s_mov_b32 s11, 0
	s_andn2_b64 vcc, exec, s[2:3]
	s_mov_b64 s[2:3], s[16:17]
	s_cbranch_vccz .LBB3_42
	s_branch .LBB3_43
.LBB3_41:                               ;   in Loop: Header=BB3_36 Depth=1
                                        ; implicit-def: $vgpr10_vgpr11
                                        ; implicit-def: $sgpr11
	s_mov_b64 s[2:3], s[16:17]
.LBB3_42:                               ;   in Loop: Header=BB3_36 Depth=1
	global_load_dwordx2 v[10:11], v31, s[16:17]
	s_add_i32 s11, s20, -8
	s_add_u32 s2, s16, 8
	s_addc_u32 s3, s17, 0
.LBB3_43:                               ;   in Loop: Header=BB3_36 Depth=1
	s_cmp_gt_u32 s11, 7
	s_cbranch_scc1 .LBB3_47
; %bb.44:                               ;   in Loop: Header=BB3_36 Depth=1
	s_cmp_eq_u32 s11, 0
	s_cbranch_scc1 .LBB3_48
; %bb.45:                               ;   in Loop: Header=BB3_36 Depth=1
	s_mov_b64 s[22:23], 0
	v_pk_mov_b32 v[12:13], 0, 0
	s_mov_b64 s[24:25], 0
.LBB3_46:                               ;   Parent Loop BB3_36 Depth=1
                                        ; =>  This Inner Loop Header: Depth=2
	s_add_u32 s26, s2, s24
	s_addc_u32 s27, s3, s25
	global_load_ubyte v4, v31, s[26:27]
	s_add_u32 s24, s24, 1
	s_addc_u32 s25, s25, 0
	s_waitcnt vmcnt(0)
	v_and_b32_e32 v30, 0xffff, v4
	v_lshlrev_b64 v[4:5], s22, v[30:31]
	s_add_u32 s22, s22, 8
	s_addc_u32 s23, s23, 0
	v_or_b32_e32 v12, v4, v12
	s_cmp_lg_u32 s11, s24
	v_or_b32_e32 v13, v5, v13
	s_cbranch_scc1 .LBB3_46
	s_branch .LBB3_49
.LBB3_47:                               ;   in Loop: Header=BB3_36 Depth=1
                                        ; implicit-def: $vgpr12_vgpr13
                                        ; implicit-def: $sgpr26
	s_branch .LBB3_50
.LBB3_48:                               ;   in Loop: Header=BB3_36 Depth=1
	v_pk_mov_b32 v[12:13], 0, 0
.LBB3_49:                               ;   in Loop: Header=BB3_36 Depth=1
	s_mov_b32 s26, 0
	s_cbranch_execnz .LBB3_51
.LBB3_50:                               ;   in Loop: Header=BB3_36 Depth=1
	global_load_dwordx2 v[12:13], v31, s[2:3]
	s_add_i32 s26, s11, -8
	s_add_u32 s2, s2, 8
	s_addc_u32 s3, s3, 0
.LBB3_51:                               ;   in Loop: Header=BB3_36 Depth=1
	s_cmp_gt_u32 s26, 7
	s_cbranch_scc1 .LBB3_55
; %bb.52:                               ;   in Loop: Header=BB3_36 Depth=1
	s_cmp_eq_u32 s26, 0
	s_cbranch_scc1 .LBB3_56
; %bb.53:                               ;   in Loop: Header=BB3_36 Depth=1
	s_mov_b64 s[22:23], 0
	v_pk_mov_b32 v[14:15], 0, 0
	s_mov_b64 s[24:25], 0
.LBB3_54:                               ;   Parent Loop BB3_36 Depth=1
                                        ; =>  This Inner Loop Header: Depth=2
	s_add_u32 s28, s2, s24
	s_addc_u32 s29, s3, s25
	global_load_ubyte v4, v31, s[28:29]
	s_add_u32 s24, s24, 1
	s_addc_u32 s25, s25, 0
	s_waitcnt vmcnt(0)
	v_and_b32_e32 v30, 0xffff, v4
	v_lshlrev_b64 v[4:5], s22, v[30:31]
	s_add_u32 s22, s22, 8
	s_addc_u32 s23, s23, 0
	v_or_b32_e32 v14, v4, v14
	s_cmp_lg_u32 s26, s24
	v_or_b32_e32 v15, v5, v15
	s_cbranch_scc1 .LBB3_54
	s_branch .LBB3_57
.LBB3_55:                               ;   in Loop: Header=BB3_36 Depth=1
                                        ; implicit-def: $sgpr11
	s_branch .LBB3_58
.LBB3_56:                               ;   in Loop: Header=BB3_36 Depth=1
	v_pk_mov_b32 v[14:15], 0, 0
.LBB3_57:                               ;   in Loop: Header=BB3_36 Depth=1
	s_mov_b32 s11, 0
	s_cbranch_execnz .LBB3_59
.LBB3_58:                               ;   in Loop: Header=BB3_36 Depth=1
	global_load_dwordx2 v[14:15], v31, s[2:3]
	s_add_i32 s11, s26, -8
	s_add_u32 s2, s2, 8
	s_addc_u32 s3, s3, 0
.LBB3_59:                               ;   in Loop: Header=BB3_36 Depth=1
	s_cmp_gt_u32 s11, 7
	s_cbranch_scc1 .LBB3_63
; %bb.60:                               ;   in Loop: Header=BB3_36 Depth=1
	s_cmp_eq_u32 s11, 0
	s_cbranch_scc1 .LBB3_64
; %bb.61:                               ;   in Loop: Header=BB3_36 Depth=1
	s_mov_b64 s[22:23], 0
	v_pk_mov_b32 v[16:17], 0, 0
	s_mov_b64 s[24:25], 0
.LBB3_62:                               ;   Parent Loop BB3_36 Depth=1
                                        ; =>  This Inner Loop Header: Depth=2
	s_add_u32 s26, s2, s24
	s_addc_u32 s27, s3, s25
	global_load_ubyte v4, v31, s[26:27]
	s_add_u32 s24, s24, 1
	s_addc_u32 s25, s25, 0
	s_waitcnt vmcnt(0)
	v_and_b32_e32 v30, 0xffff, v4
	v_lshlrev_b64 v[4:5], s22, v[30:31]
	s_add_u32 s22, s22, 8
	s_addc_u32 s23, s23, 0
	v_or_b32_e32 v16, v4, v16
	s_cmp_lg_u32 s11, s24
	v_or_b32_e32 v17, v5, v17
	s_cbranch_scc1 .LBB3_62
	s_branch .LBB3_65
.LBB3_63:                               ;   in Loop: Header=BB3_36 Depth=1
                                        ; implicit-def: $vgpr16_vgpr17
                                        ; implicit-def: $sgpr26
	s_branch .LBB3_66
.LBB3_64:                               ;   in Loop: Header=BB3_36 Depth=1
	v_pk_mov_b32 v[16:17], 0, 0
.LBB3_65:                               ;   in Loop: Header=BB3_36 Depth=1
	s_mov_b32 s26, 0
	s_cbranch_execnz .LBB3_67
.LBB3_66:                               ;   in Loop: Header=BB3_36 Depth=1
	global_load_dwordx2 v[16:17], v31, s[2:3]
	s_add_i32 s26, s11, -8
	s_add_u32 s2, s2, 8
	s_addc_u32 s3, s3, 0
.LBB3_67:                               ;   in Loop: Header=BB3_36 Depth=1
	s_cmp_gt_u32 s26, 7
	s_cbranch_scc1 .LBB3_71
; %bb.68:                               ;   in Loop: Header=BB3_36 Depth=1
	s_cmp_eq_u32 s26, 0
	s_cbranch_scc1 .LBB3_72
; %bb.69:                               ;   in Loop: Header=BB3_36 Depth=1
	s_mov_b64 s[22:23], 0
	v_pk_mov_b32 v[18:19], 0, 0
	s_mov_b64 s[24:25], 0
.LBB3_70:                               ;   Parent Loop BB3_36 Depth=1
                                        ; =>  This Inner Loop Header: Depth=2
	s_add_u32 s28, s2, s24
	s_addc_u32 s29, s3, s25
	global_load_ubyte v4, v31, s[28:29]
	s_add_u32 s24, s24, 1
	s_addc_u32 s25, s25, 0
	s_waitcnt vmcnt(0)
	v_and_b32_e32 v30, 0xffff, v4
	v_lshlrev_b64 v[4:5], s22, v[30:31]
	s_add_u32 s22, s22, 8
	s_addc_u32 s23, s23, 0
	v_or_b32_e32 v18, v4, v18
	s_cmp_lg_u32 s26, s24
	v_or_b32_e32 v19, v5, v19
	s_cbranch_scc1 .LBB3_70
	s_branch .LBB3_73
.LBB3_71:                               ;   in Loop: Header=BB3_36 Depth=1
                                        ; implicit-def: $sgpr11
	s_branch .LBB3_74
.LBB3_72:                               ;   in Loop: Header=BB3_36 Depth=1
	v_pk_mov_b32 v[18:19], 0, 0
.LBB3_73:                               ;   in Loop: Header=BB3_36 Depth=1
	s_mov_b32 s11, 0
	s_cbranch_execnz .LBB3_75
.LBB3_74:                               ;   in Loop: Header=BB3_36 Depth=1
	global_load_dwordx2 v[18:19], v31, s[2:3]
	s_add_i32 s11, s26, -8
	s_add_u32 s2, s2, 8
	s_addc_u32 s3, s3, 0
.LBB3_75:                               ;   in Loop: Header=BB3_36 Depth=1
	s_cmp_gt_u32 s11, 7
	s_cbranch_scc1 .LBB3_79
; %bb.76:                               ;   in Loop: Header=BB3_36 Depth=1
	s_cmp_eq_u32 s11, 0
	s_cbranch_scc1 .LBB3_80
; %bb.77:                               ;   in Loop: Header=BB3_36 Depth=1
	s_mov_b64 s[22:23], 0
	v_pk_mov_b32 v[20:21], 0, 0
	s_mov_b64 s[24:25], 0
.LBB3_78:                               ;   Parent Loop BB3_36 Depth=1
                                        ; =>  This Inner Loop Header: Depth=2
	s_add_u32 s26, s2, s24
	s_addc_u32 s27, s3, s25
	global_load_ubyte v4, v31, s[26:27]
	s_add_u32 s24, s24, 1
	s_addc_u32 s25, s25, 0
	s_waitcnt vmcnt(0)
	v_and_b32_e32 v30, 0xffff, v4
	v_lshlrev_b64 v[4:5], s22, v[30:31]
	s_add_u32 s22, s22, 8
	s_addc_u32 s23, s23, 0
	v_or_b32_e32 v20, v4, v20
	s_cmp_lg_u32 s11, s24
	v_or_b32_e32 v21, v5, v21
	s_cbranch_scc1 .LBB3_78
	s_branch .LBB3_81
.LBB3_79:                               ;   in Loop: Header=BB3_36 Depth=1
                                        ; implicit-def: $vgpr20_vgpr21
                                        ; implicit-def: $sgpr26
	s_branch .LBB3_82
.LBB3_80:                               ;   in Loop: Header=BB3_36 Depth=1
	v_pk_mov_b32 v[20:21], 0, 0
.LBB3_81:                               ;   in Loop: Header=BB3_36 Depth=1
	s_mov_b32 s26, 0
	s_cbranch_execnz .LBB3_83
.LBB3_82:                               ;   in Loop: Header=BB3_36 Depth=1
	global_load_dwordx2 v[20:21], v31, s[2:3]
	s_add_i32 s26, s11, -8
	s_add_u32 s2, s2, 8
	s_addc_u32 s3, s3, 0
.LBB3_83:                               ;   in Loop: Header=BB3_36 Depth=1
	s_cmp_gt_u32 s26, 7
	s_cbranch_scc1 .LBB3_87
; %bb.84:                               ;   in Loop: Header=BB3_36 Depth=1
	s_cmp_eq_u32 s26, 0
	s_cbranch_scc1 .LBB3_88
; %bb.85:                               ;   in Loop: Header=BB3_36 Depth=1
	s_mov_b64 s[22:23], 0
	v_pk_mov_b32 v[22:23], 0, 0
	s_mov_b64 s[24:25], s[2:3]
.LBB3_86:                               ;   Parent Loop BB3_36 Depth=1
                                        ; =>  This Inner Loop Header: Depth=2
	global_load_ubyte v4, v31, s[24:25]
	s_add_i32 s26, s26, -1
	s_waitcnt vmcnt(0)
	v_and_b32_e32 v30, 0xffff, v4
	v_lshlrev_b64 v[4:5], s22, v[30:31]
	s_add_u32 s22, s22, 8
	s_addc_u32 s23, s23, 0
	s_add_u32 s24, s24, 1
	s_addc_u32 s25, s25, 0
	v_or_b32_e32 v22, v4, v22
	s_cmp_lg_u32 s26, 0
	v_or_b32_e32 v23, v5, v23
	s_cbranch_scc1 .LBB3_86
	s_branch .LBB3_89
.LBB3_87:                               ;   in Loop: Header=BB3_36 Depth=1
	s_branch .LBB3_90
.LBB3_88:                               ;   in Loop: Header=BB3_36 Depth=1
	v_pk_mov_b32 v[22:23], 0, 0
.LBB3_89:                               ;   in Loop: Header=BB3_36 Depth=1
	s_cbranch_execnz .LBB3_91
.LBB3_90:                               ;   in Loop: Header=BB3_36 Depth=1
	global_load_dwordx2 v[22:23], v31, s[2:3]
.LBB3_91:                               ;   in Loop: Header=BB3_36 Depth=1
	v_readfirstlane_b32 s2, v34
	v_cmp_eq_u32_e64 s[2:3], s2, v34
	s_waitcnt vmcnt(0)
	v_pk_mov_b32 v[4:5], 0, 0
	s_and_saveexec_b64 s[22:23], s[2:3]
	s_cbranch_execz .LBB3_97
; %bb.92:                               ;   in Loop: Header=BB3_36 Depth=1
	global_load_dwordx2 v[26:27], v31, s[14:15] offset:24 glc
	s_waitcnt vmcnt(0)
	buffer_invl2
	buffer_wbinvl1_vol
	global_load_dwordx2 v[4:5], v31, s[14:15] offset:40
	global_load_dwordx2 v[8:9], v31, s[14:15]
	s_waitcnt vmcnt(1)
	v_and_b32_e32 v4, v4, v26
	v_and_b32_e32 v5, v5, v27
	v_mul_lo_u32 v5, v5, 24
	v_mul_hi_u32 v24, v4, 24
	v_mul_lo_u32 v4, v4, 24
	v_add_u32_e32 v5, v24, v5
	s_waitcnt vmcnt(0)
	v_add_co_u32_e32 v4, vcc, v8, v4
	v_addc_co_u32_e32 v5, vcc, v9, v5, vcc
	global_load_dwordx2 v[24:25], v[4:5], off glc
	s_waitcnt vmcnt(0)
	global_atomic_cmpswap_x2 v[4:5], v31, v[24:27], s[14:15] offset:24 glc
	s_waitcnt vmcnt(0)
	buffer_invl2
	buffer_wbinvl1_vol
	v_cmp_ne_u64_e32 vcc, v[4:5], v[26:27]
	s_and_saveexec_b64 s[24:25], vcc
	s_cbranch_execz .LBB3_96
; %bb.93:                               ;   in Loop: Header=BB3_36 Depth=1
	s_mov_b64 s[26:27], 0
.LBB3_94:                               ;   Parent Loop BB3_36 Depth=1
                                        ; =>  This Inner Loop Header: Depth=2
	s_sleep 1
	global_load_dwordx2 v[8:9], v31, s[14:15] offset:40
	global_load_dwordx2 v[24:25], v31, s[14:15]
	v_pk_mov_b32 v[26:27], v[4:5], v[4:5] op_sel:[0,1]
	s_waitcnt vmcnt(1)
	v_and_b32_e32 v4, v8, v26
	s_waitcnt vmcnt(0)
	v_mad_u64_u32 v[4:5], s[28:29], v4, 24, v[24:25]
	v_and_b32_e32 v9, v9, v27
	v_mov_b32_e32 v8, v5
	v_mad_u64_u32 v[8:9], s[28:29], v9, 24, v[8:9]
	v_mov_b32_e32 v5, v8
	global_load_dwordx2 v[24:25], v[4:5], off glc
	s_waitcnt vmcnt(0)
	global_atomic_cmpswap_x2 v[4:5], v31, v[24:27], s[14:15] offset:24 glc
	s_waitcnt vmcnt(0)
	buffer_invl2
	buffer_wbinvl1_vol
	v_cmp_eq_u64_e32 vcc, v[4:5], v[26:27]
	s_or_b64 s[26:27], vcc, s[26:27]
	s_andn2_b64 exec, exec, s[26:27]
	s_cbranch_execnz .LBB3_94
; %bb.95:                               ;   in Loop: Header=BB3_36 Depth=1
	s_or_b64 exec, exec, s[26:27]
.LBB3_96:                               ;   in Loop: Header=BB3_36 Depth=1
	s_or_b64 exec, exec, s[24:25]
.LBB3_97:                               ;   in Loop: Header=BB3_36 Depth=1
	s_or_b64 exec, exec, s[22:23]
	global_load_dwordx2 v[8:9], v31, s[14:15] offset:40
	global_load_dwordx4 v[24:27], v31, s[14:15]
	v_readfirstlane_b32 s22, v4
	v_readfirstlane_b32 s23, v5
	s_mov_b64 s[24:25], exec
	s_waitcnt vmcnt(1)
	v_readfirstlane_b32 s26, v8
	v_readfirstlane_b32 s27, v9
	s_and_b64 s[26:27], s[22:23], s[26:27]
	s_mul_i32 s11, s27, 24
	s_mul_hi_u32 s28, s26, 24
	s_mul_i32 s29, s26, 24
	s_add_i32 s11, s28, s11
	v_mov_b32_e32 v4, s11
	s_waitcnt vmcnt(0)
	v_add_co_u32_e32 v32, vcc, s29, v24
	v_addc_co_u32_e32 v33, vcc, v25, v4, vcc
	s_and_saveexec_b64 s[28:29], s[2:3]
	s_cbranch_execz .LBB3_99
; %bb.98:                               ;   in Loop: Header=BB3_36 Depth=1
	v_pk_mov_b32 v[4:5], s[24:25], s[24:25] op_sel:[0,1]
	global_store_dwordx4 v[32:33], v[4:7], off offset:8
.LBB3_99:                               ;   in Loop: Header=BB3_36 Depth=1
	s_or_b64 exec, exec, s[28:29]
	s_lshl_b64 s[24:25], s[26:27], 12
	v_mov_b32_e32 v4, s25
	v_add_co_u32_e32 v26, vcc, s24, v26
	v_addc_co_u32_e32 v27, vcc, v27, v4, vcc
	v_or_b32_e32 v5, v2, v28
	v_cmp_gt_u64_e64 vcc, s[18:19], 56
	s_lshl_b32 s11, s20, 2
	v_cndmask_b32_e32 v2, v5, v2, vcc
	s_add_i32 s11, s11, 28
	v_or_b32_e32 v4, 0, v3
	s_and_b32 s11, s11, 0x1e0
	v_and_b32_e32 v2, 0xffffff1f, v2
	v_cndmask_b32_e32 v9, v4, v3, vcc
	v_or_b32_e32 v8, s11, v2
	v_readfirstlane_b32 s24, v26
	v_readfirstlane_b32 s25, v27
	s_nop 4
	global_store_dwordx4 v29, v[8:11], s[24:25]
	global_store_dwordx4 v29, v[12:15], s[24:25] offset:16
	global_store_dwordx4 v29, v[16:19], s[24:25] offset:32
	;; [unrolled: 1-line block ×3, first 2 shown]
	s_and_saveexec_b64 s[24:25], s[2:3]
	s_cbranch_execz .LBB3_107
; %bb.100:                              ;   in Loop: Header=BB3_36 Depth=1
	global_load_dwordx2 v[12:13], v31, s[14:15] offset:32 glc
	global_load_dwordx2 v[2:3], v31, s[14:15] offset:40
	v_mov_b32_e32 v10, s22
	v_mov_b32_e32 v11, s23
	s_waitcnt vmcnt(0)
	v_readfirstlane_b32 s26, v2
	v_readfirstlane_b32 s27, v3
	s_and_b64 s[26:27], s[26:27], s[22:23]
	s_mul_i32 s11, s27, 24
	s_mul_hi_u32 s27, s26, 24
	s_mul_i32 s26, s26, 24
	s_add_i32 s11, s27, s11
	v_mov_b32_e32 v2, s11
	v_add_co_u32_e32 v8, vcc, s26, v24
	v_addc_co_u32_e32 v9, vcc, v25, v2, vcc
	global_store_dwordx2 v[8:9], v[12:13], off
	buffer_wbl2
	s_waitcnt vmcnt(0)
	global_atomic_cmpswap_x2 v[4:5], v31, v[10:13], s[14:15] offset:32 glc
	s_waitcnt vmcnt(0)
	v_cmp_ne_u64_e32 vcc, v[4:5], v[12:13]
	s_and_saveexec_b64 s[26:27], vcc
	s_cbranch_execz .LBB3_103
; %bb.101:                              ;   in Loop: Header=BB3_36 Depth=1
	s_mov_b64 s[28:29], 0
.LBB3_102:                              ;   Parent Loop BB3_36 Depth=1
                                        ; =>  This Inner Loop Header: Depth=2
	s_sleep 1
	global_store_dwordx2 v[8:9], v[4:5], off
	v_mov_b32_e32 v2, s22
	v_mov_b32_e32 v3, s23
	buffer_wbl2
	s_waitcnt vmcnt(0)
	global_atomic_cmpswap_x2 v[2:3], v31, v[2:5], s[14:15] offset:32 glc
	s_waitcnt vmcnt(0)
	v_cmp_eq_u64_e32 vcc, v[2:3], v[4:5]
	s_or_b64 s[28:29], vcc, s[28:29]
	v_pk_mov_b32 v[4:5], v[2:3], v[2:3] op_sel:[0,1]
	s_andn2_b64 exec, exec, s[28:29]
	s_cbranch_execnz .LBB3_102
.LBB3_103:                              ;   in Loop: Header=BB3_36 Depth=1
	s_or_b64 exec, exec, s[26:27]
	global_load_dwordx2 v[2:3], v31, s[14:15] offset:16
	s_mov_b64 s[28:29], exec
	v_mbcnt_lo_u32_b32 v4, s28, 0
	v_mbcnt_hi_u32_b32 v4, s29, v4
	v_cmp_eq_u32_e32 vcc, 0, v4
	s_and_saveexec_b64 s[26:27], vcc
	s_cbranch_execz .LBB3_105
; %bb.104:                              ;   in Loop: Header=BB3_36 Depth=1
	s_bcnt1_i32_b64 s11, s[28:29]
	v_mov_b32_e32 v30, s11
	buffer_wbl2
	s_waitcnt vmcnt(0)
	global_atomic_add_x2 v[2:3], v[30:31], off offset:8
.LBB3_105:                              ;   in Loop: Header=BB3_36 Depth=1
	s_or_b64 exec, exec, s[26:27]
	s_waitcnt vmcnt(0)
	global_load_dwordx2 v[4:5], v[2:3], off offset:16
	s_waitcnt vmcnt(0)
	v_cmp_eq_u64_e32 vcc, 0, v[4:5]
	s_cbranch_vccnz .LBB3_107
; %bb.106:                              ;   in Loop: Header=BB3_36 Depth=1
	global_load_dword v30, v[2:3], off offset:24
	s_waitcnt vmcnt(0)
	v_and_b32_e32 v2, 0xffffff, v30
	v_readfirstlane_b32 m0, v2
	buffer_wbl2
	global_store_dwordx2 v[4:5], v[30:31], off
	s_sendmsg sendmsg(MSG_INTERRUPT)
.LBB3_107:                              ;   in Loop: Header=BB3_36 Depth=1
	s_or_b64 exec, exec, s[24:25]
	v_add_co_u32_e32 v2, vcc, v26, v29
	v_addc_co_u32_e32 v3, vcc, 0, v27, vcc
	s_branch .LBB3_111
.LBB3_108:                              ;   in Loop: Header=BB3_111 Depth=2
	s_or_b64 exec, exec, s[24:25]
	v_readfirstlane_b32 s11, v4
	s_cmp_eq_u32 s11, 0
	s_cbranch_scc1 .LBB3_110
; %bb.109:                              ;   in Loop: Header=BB3_111 Depth=2
	s_sleep 1
	s_cbranch_execnz .LBB3_111
	s_branch .LBB3_113
.LBB3_110:                              ;   in Loop: Header=BB3_36 Depth=1
	s_branch .LBB3_113
.LBB3_111:                              ;   Parent Loop BB3_36 Depth=1
                                        ; =>  This Inner Loop Header: Depth=2
	v_mov_b32_e32 v4, 1
	s_and_saveexec_b64 s[24:25], s[2:3]
	s_cbranch_execz .LBB3_108
; %bb.112:                              ;   in Loop: Header=BB3_111 Depth=2
	global_load_dword v4, v[32:33], off offset:20 glc
	s_waitcnt vmcnt(0)
	buffer_invl2
	buffer_wbinvl1_vol
	v_and_b32_e32 v4, 1, v4
	s_branch .LBB3_108
.LBB3_113:                              ;   in Loop: Header=BB3_36 Depth=1
	global_load_dwordx4 v[2:5], v[2:3], off
	s_and_saveexec_b64 s[24:25], s[2:3]
	s_cbranch_execz .LBB3_35
; %bb.114:                              ;   in Loop: Header=BB3_36 Depth=1
	global_load_dwordx2 v[4:5], v31, s[14:15] offset:40
	global_load_dwordx2 v[12:13], v31, s[14:15] offset:24 glc
	global_load_dwordx2 v[14:15], v31, s[14:15]
	v_mov_b32_e32 v9, s23
	s_waitcnt vmcnt(2)
	v_add_co_u32_e32 v11, vcc, 1, v4
	v_addc_co_u32_e32 v16, vcc, 0, v5, vcc
	v_add_co_u32_e32 v8, vcc, s22, v11
	v_addc_co_u32_e32 v9, vcc, v16, v9, vcc
	v_cmp_eq_u64_e32 vcc, 0, v[8:9]
	v_cndmask_b32_e32 v9, v9, v16, vcc
	v_cndmask_b32_e32 v8, v8, v11, vcc
	v_and_b32_e32 v5, v9, v5
	v_and_b32_e32 v4, v8, v4
	v_mul_lo_u32 v5, v5, 24
	v_mul_hi_u32 v11, v4, 24
	v_mul_lo_u32 v4, v4, 24
	v_add_u32_e32 v5, v11, v5
	s_waitcnt vmcnt(0)
	v_add_co_u32_e32 v4, vcc, v14, v4
	v_addc_co_u32_e32 v5, vcc, v15, v5, vcc
	v_mov_b32_e32 v10, v12
	global_store_dwordx2 v[4:5], v[12:13], off
	v_mov_b32_e32 v11, v13
	buffer_wbl2
	s_waitcnt vmcnt(0)
	global_atomic_cmpswap_x2 v[10:11], v31, v[8:11], s[14:15] offset:24 glc
	s_waitcnt vmcnt(0)
	v_cmp_ne_u64_e32 vcc, v[10:11], v[12:13]
	s_and_b64 exec, exec, vcc
	s_cbranch_execz .LBB3_35
; %bb.115:                              ;   in Loop: Header=BB3_36 Depth=1
	s_mov_b64 s[2:3], 0
.LBB3_116:                              ;   Parent Loop BB3_36 Depth=1
                                        ; =>  This Inner Loop Header: Depth=2
	s_sleep 1
	global_store_dwordx2 v[4:5], v[10:11], off
	buffer_wbl2
	s_waitcnt vmcnt(0)
	global_atomic_cmpswap_x2 v[12:13], v31, v[8:11], s[14:15] offset:24 glc
	s_waitcnt vmcnt(0)
	v_cmp_eq_u64_e32 vcc, v[12:13], v[10:11]
	s_or_b64 s[2:3], vcc, s[2:3]
	v_pk_mov_b32 v[10:11], v[12:13], v[12:13] op_sel:[0,1]
	s_andn2_b64 exec, exec, s[2:3]
	s_cbranch_execnz .LBB3_116
	s_branch .LBB3_35
.LBB3_117:
	s_branch .LBB3_145
.LBB3_118:
                                        ; implicit-def: $vgpr2_vgpr3
	s_cbranch_execz .LBB3_145
; %bb.119:
	v_readfirstlane_b32 s2, v34
	v_cmp_eq_u32_e64 s[2:3], s2, v34
	v_pk_mov_b32 v[8:9], 0, 0
	s_and_saveexec_b64 s[16:17], s[2:3]
	s_cbranch_execz .LBB3_125
; %bb.120:
	s_waitcnt vmcnt(0)
	v_mov_b32_e32 v2, 0
	global_load_dwordx2 v[6:7], v2, s[14:15] offset:24 glc
	s_waitcnt vmcnt(0)
	buffer_invl2
	buffer_wbinvl1_vol
	global_load_dwordx2 v[4:5], v2, s[14:15] offset:40
	global_load_dwordx2 v[8:9], v2, s[14:15]
	s_waitcnt vmcnt(1)
	v_and_b32_e32 v3, v4, v6
	v_and_b32_e32 v4, v5, v7
	v_mul_lo_u32 v4, v4, 24
	v_mul_hi_u32 v5, v3, 24
	v_mul_lo_u32 v3, v3, 24
	v_add_u32_e32 v5, v5, v4
	s_waitcnt vmcnt(0)
	v_add_co_u32_e32 v4, vcc, v8, v3
	v_addc_co_u32_e32 v5, vcc, v9, v5, vcc
	global_load_dwordx2 v[4:5], v[4:5], off glc
	s_waitcnt vmcnt(0)
	global_atomic_cmpswap_x2 v[8:9], v2, v[4:7], s[14:15] offset:24 glc
	s_waitcnt vmcnt(0)
	buffer_invl2
	buffer_wbinvl1_vol
	v_cmp_ne_u64_e32 vcc, v[8:9], v[6:7]
	s_and_saveexec_b64 s[18:19], vcc
	s_cbranch_execz .LBB3_124
; %bb.121:
	s_mov_b64 s[20:21], 0
.LBB3_122:                              ; =>This Inner Loop Header: Depth=1
	s_sleep 1
	global_load_dwordx2 v[4:5], v2, s[14:15] offset:40
	global_load_dwordx2 v[10:11], v2, s[14:15]
	v_pk_mov_b32 v[6:7], v[8:9], v[8:9] op_sel:[0,1]
	s_waitcnt vmcnt(1)
	v_and_b32_e32 v4, v4, v6
	v_and_b32_e32 v3, v5, v7
	s_waitcnt vmcnt(0)
	v_mad_u64_u32 v[4:5], s[22:23], v4, 24, v[10:11]
	v_mov_b32_e32 v8, v5
	v_mad_u64_u32 v[8:9], s[22:23], v3, 24, v[8:9]
	v_mov_b32_e32 v5, v8
	global_load_dwordx2 v[4:5], v[4:5], off glc
	s_waitcnt vmcnt(0)
	global_atomic_cmpswap_x2 v[8:9], v2, v[4:7], s[14:15] offset:24 glc
	s_waitcnt vmcnt(0)
	buffer_invl2
	buffer_wbinvl1_vol
	v_cmp_eq_u64_e32 vcc, v[8:9], v[6:7]
	s_or_b64 s[20:21], vcc, s[20:21]
	s_andn2_b64 exec, exec, s[20:21]
	s_cbranch_execnz .LBB3_122
; %bb.123:
	s_or_b64 exec, exec, s[20:21]
.LBB3_124:
	s_or_b64 exec, exec, s[18:19]
.LBB3_125:
	s_or_b64 exec, exec, s[16:17]
	s_waitcnt vmcnt(0)
	v_mov_b32_e32 v2, 0
	global_load_dwordx2 v[10:11], v2, s[14:15] offset:40
	global_load_dwordx4 v[4:7], v2, s[14:15]
	v_readfirstlane_b32 s16, v8
	v_readfirstlane_b32 s17, v9
	s_mov_b64 s[18:19], exec
	s_waitcnt vmcnt(1)
	v_readfirstlane_b32 s20, v10
	v_readfirstlane_b32 s21, v11
	s_and_b64 s[20:21], s[16:17], s[20:21]
	s_mul_i32 s11, s21, 24
	s_mul_hi_u32 s22, s20, 24
	s_mul_i32 s23, s20, 24
	s_add_i32 s11, s22, s11
	v_mov_b32_e32 v3, s11
	s_waitcnt vmcnt(0)
	v_add_co_u32_e32 v8, vcc, s23, v4
	v_addc_co_u32_e32 v9, vcc, v5, v3, vcc
	s_and_saveexec_b64 s[22:23], s[2:3]
	s_cbranch_execz .LBB3_127
; %bb.126:
	v_pk_mov_b32 v[10:11], s[18:19], s[18:19] op_sel:[0,1]
	v_mov_b32_e32 v12, 2
	v_mov_b32_e32 v13, 1
	global_store_dwordx4 v[8:9], v[10:13], off offset:8
.LBB3_127:
	s_or_b64 exec, exec, s[22:23]
	s_lshl_b64 s[18:19], s[20:21], 12
	v_mov_b32_e32 v3, s19
	v_add_co_u32_e32 v10, vcc, s18, v6
	v_addc_co_u32_e32 v11, vcc, v7, v3, vcc
	s_movk_i32 s11, 0xff1f
	s_mov_b32 s20, 0
	v_and_or_b32 v0, v0, s11, 32
	v_mov_b32_e32 v3, v2
	v_readfirstlane_b32 s18, v10
	v_readfirstlane_b32 s19, v11
	s_mov_b32 s21, s20
	v_add_co_u32_e32 v6, vcc, v10, v29
	s_mov_b32 s22, s20
	s_mov_b32 s23, s20
	s_nop 0
	global_store_dwordx4 v29, v[0:3], s[18:19]
	v_addc_co_u32_e32 v7, vcc, 0, v11, vcc
	v_pk_mov_b32 v[0:1], s[20:21], s[20:21] op_sel:[0,1]
	v_pk_mov_b32 v[2:3], s[22:23], s[22:23] op_sel:[0,1]
	global_store_dwordx4 v29, v[0:3], s[18:19] offset:16
	global_store_dwordx4 v29, v[0:3], s[18:19] offset:32
	;; [unrolled: 1-line block ×3, first 2 shown]
	s_and_saveexec_b64 s[18:19], s[2:3]
	s_cbranch_execz .LBB3_135
; %bb.128:
	v_mov_b32_e32 v10, 0
	global_load_dwordx2 v[14:15], v10, s[14:15] offset:32 glc
	global_load_dwordx2 v[0:1], v10, s[14:15] offset:40
	v_mov_b32_e32 v12, s16
	v_mov_b32_e32 v13, s17
	s_waitcnt vmcnt(0)
	v_readfirstlane_b32 s20, v0
	v_readfirstlane_b32 s21, v1
	s_and_b64 s[20:21], s[20:21], s[16:17]
	s_mul_i32 s11, s21, 24
	s_mul_hi_u32 s21, s20, 24
	s_mul_i32 s20, s20, 24
	s_add_i32 s11, s21, s11
	v_mov_b32_e32 v0, s11
	v_add_co_u32_e32 v4, vcc, s20, v4
	v_addc_co_u32_e32 v5, vcc, v5, v0, vcc
	global_store_dwordx2 v[4:5], v[14:15], off
	buffer_wbl2
	s_waitcnt vmcnt(0)
	global_atomic_cmpswap_x2 v[2:3], v10, v[12:15], s[14:15] offset:32 glc
	s_waitcnt vmcnt(0)
	v_cmp_ne_u64_e32 vcc, v[2:3], v[14:15]
	s_and_saveexec_b64 s[20:21], vcc
	s_cbranch_execz .LBB3_131
; %bb.129:
	s_mov_b64 s[22:23], 0
.LBB3_130:                              ; =>This Inner Loop Header: Depth=1
	s_sleep 1
	global_store_dwordx2 v[4:5], v[2:3], off
	v_mov_b32_e32 v0, s16
	v_mov_b32_e32 v1, s17
	buffer_wbl2
	s_waitcnt vmcnt(0)
	global_atomic_cmpswap_x2 v[0:1], v10, v[0:3], s[14:15] offset:32 glc
	s_waitcnt vmcnt(0)
	v_cmp_eq_u64_e32 vcc, v[0:1], v[2:3]
	s_or_b64 s[22:23], vcc, s[22:23]
	v_pk_mov_b32 v[2:3], v[0:1], v[0:1] op_sel:[0,1]
	s_andn2_b64 exec, exec, s[22:23]
	s_cbranch_execnz .LBB3_130
.LBB3_131:
	s_or_b64 exec, exec, s[20:21]
	v_mov_b32_e32 v3, 0
	global_load_dwordx2 v[0:1], v3, s[14:15] offset:16
	s_mov_b64 s[20:21], exec
	v_mbcnt_lo_u32_b32 v2, s20, 0
	v_mbcnt_hi_u32_b32 v2, s21, v2
	v_cmp_eq_u32_e32 vcc, 0, v2
	s_and_saveexec_b64 s[22:23], vcc
	s_cbranch_execz .LBB3_133
; %bb.132:
	s_bcnt1_i32_b64 s11, s[20:21]
	v_mov_b32_e32 v2, s11
	buffer_wbl2
	s_waitcnt vmcnt(0)
	global_atomic_add_x2 v[0:1], v[2:3], off offset:8
.LBB3_133:
	s_or_b64 exec, exec, s[22:23]
	s_waitcnt vmcnt(0)
	global_load_dwordx2 v[2:3], v[0:1], off offset:16
	s_waitcnt vmcnt(0)
	v_cmp_eq_u64_e32 vcc, 0, v[2:3]
	s_cbranch_vccnz .LBB3_135
; %bb.134:
	global_load_dword v0, v[0:1], off offset:24
	v_mov_b32_e32 v1, 0
	buffer_wbl2
	s_waitcnt vmcnt(0)
	global_store_dwordx2 v[2:3], v[0:1], off
	v_and_b32_e32 v0, 0xffffff, v0
	v_readfirstlane_b32 m0, v0
	s_sendmsg sendmsg(MSG_INTERRUPT)
.LBB3_135:
	s_or_b64 exec, exec, s[18:19]
	s_branch .LBB3_139
.LBB3_136:                              ;   in Loop: Header=BB3_139 Depth=1
	s_or_b64 exec, exec, s[18:19]
	v_readfirstlane_b32 s11, v0
	s_cmp_eq_u32 s11, 0
	s_cbranch_scc1 .LBB3_138
; %bb.137:                              ;   in Loop: Header=BB3_139 Depth=1
	s_sleep 1
	s_cbranch_execnz .LBB3_139
	s_branch .LBB3_141
.LBB3_138:
	s_branch .LBB3_141
.LBB3_139:                              ; =>This Inner Loop Header: Depth=1
	v_mov_b32_e32 v0, 1
	s_and_saveexec_b64 s[18:19], s[2:3]
	s_cbranch_execz .LBB3_136
; %bb.140:                              ;   in Loop: Header=BB3_139 Depth=1
	global_load_dword v0, v[8:9], off offset:20 glc
	s_waitcnt vmcnt(0)
	buffer_invl2
	buffer_wbinvl1_vol
	v_and_b32_e32 v0, 1, v0
	s_branch .LBB3_136
.LBB3_141:
	global_load_dwordx2 v[2:3], v[6:7], off
	s_and_saveexec_b64 s[18:19], s[2:3]
	s_cbranch_execz .LBB3_144
; %bb.142:
	v_mov_b32_e32 v8, 0
	global_load_dwordx2 v[0:1], v8, s[14:15] offset:40
	global_load_dwordx2 v[10:11], v8, s[14:15] offset:24 glc
	global_load_dwordx2 v[12:13], v8, s[14:15]
	v_mov_b32_e32 v5, s17
	s_mov_b64 s[2:3], 0
	s_waitcnt vmcnt(2)
	v_add_co_u32_e32 v7, vcc, 1, v0
	v_addc_co_u32_e32 v9, vcc, 0, v1, vcc
	v_add_co_u32_e32 v4, vcc, s16, v7
	v_addc_co_u32_e32 v5, vcc, v9, v5, vcc
	v_cmp_eq_u64_e32 vcc, 0, v[4:5]
	v_cndmask_b32_e32 v5, v5, v9, vcc
	v_cndmask_b32_e32 v4, v4, v7, vcc
	v_and_b32_e32 v1, v5, v1
	v_and_b32_e32 v0, v4, v0
	v_mul_lo_u32 v1, v1, 24
	v_mul_hi_u32 v7, v0, 24
	v_mul_lo_u32 v0, v0, 24
	v_add_u32_e32 v1, v7, v1
	s_waitcnt vmcnt(0)
	v_add_co_u32_e32 v0, vcc, v12, v0
	v_addc_co_u32_e32 v1, vcc, v13, v1, vcc
	v_mov_b32_e32 v6, v10
	global_store_dwordx2 v[0:1], v[10:11], off
	v_mov_b32_e32 v7, v11
	buffer_wbl2
	s_waitcnt vmcnt(0)
	global_atomic_cmpswap_x2 v[6:7], v8, v[4:7], s[14:15] offset:24 glc
	s_waitcnt vmcnt(0)
	v_cmp_ne_u64_e32 vcc, v[6:7], v[10:11]
	s_and_b64 exec, exec, vcc
	s_cbranch_execz .LBB3_144
.LBB3_143:                              ; =>This Inner Loop Header: Depth=1
	s_sleep 1
	global_store_dwordx2 v[0:1], v[6:7], off
	buffer_wbl2
	s_waitcnt vmcnt(0)
	global_atomic_cmpswap_x2 v[10:11], v8, v[4:7], s[14:15] offset:24 glc
	s_waitcnt vmcnt(0)
	v_cmp_eq_u64_e32 vcc, v[10:11], v[6:7]
	s_or_b64 s[2:3], vcc, s[2:3]
	v_pk_mov_b32 v[6:7], v[10:11], v[10:11] op_sel:[0,1]
	s_andn2_b64 exec, exec, s[2:3]
	s_cbranch_execnz .LBB3_143
.LBB3_144:
	s_or_b64 exec, exec, s[18:19]
.LBB3_145:
	v_readfirstlane_b32 s2, v34
	v_cmp_eq_u32_e64 s[2:3], s2, v34
	s_waitcnt vmcnt(0)
	v_pk_mov_b32 v[0:1], 0, 0
	s_and_saveexec_b64 s[16:17], s[2:3]
	s_cbranch_execz .LBB3_151
; %bb.146:
	v_mov_b32_e32 v4, 0
	global_load_dwordx2 v[8:9], v4, s[14:15] offset:24 glc
	s_waitcnt vmcnt(0)
	buffer_invl2
	buffer_wbinvl1_vol
	global_load_dwordx2 v[0:1], v4, s[14:15] offset:40
	global_load_dwordx2 v[6:7], v4, s[14:15]
	s_waitcnt vmcnt(1)
	v_and_b32_e32 v0, v0, v8
	v_and_b32_e32 v1, v1, v9
	v_mul_lo_u32 v1, v1, 24
	v_mul_hi_u32 v5, v0, 24
	v_mul_lo_u32 v0, v0, 24
	v_add_u32_e32 v1, v5, v1
	s_waitcnt vmcnt(0)
	v_add_co_u32_e32 v0, vcc, v6, v0
	v_addc_co_u32_e32 v1, vcc, v7, v1, vcc
	global_load_dwordx2 v[6:7], v[0:1], off glc
	s_waitcnt vmcnt(0)
	global_atomic_cmpswap_x2 v[0:1], v4, v[6:9], s[14:15] offset:24 glc
	s_waitcnt vmcnt(0)
	buffer_invl2
	buffer_wbinvl1_vol
	v_cmp_ne_u64_e32 vcc, v[0:1], v[8:9]
	s_and_saveexec_b64 s[18:19], vcc
	s_cbranch_execz .LBB3_150
; %bb.147:
	s_mov_b64 s[20:21], 0
.LBB3_148:                              ; =>This Inner Loop Header: Depth=1
	s_sleep 1
	global_load_dwordx2 v[6:7], v4, s[14:15] offset:40
	global_load_dwordx2 v[10:11], v4, s[14:15]
	v_pk_mov_b32 v[8:9], v[0:1], v[0:1] op_sel:[0,1]
	s_waitcnt vmcnt(1)
	v_and_b32_e32 v0, v6, v8
	s_waitcnt vmcnt(0)
	v_mad_u64_u32 v[0:1], s[22:23], v0, 24, v[10:11]
	v_and_b32_e32 v5, v7, v9
	v_mov_b32_e32 v6, v1
	v_mad_u64_u32 v[6:7], s[22:23], v5, 24, v[6:7]
	v_mov_b32_e32 v1, v6
	global_load_dwordx2 v[6:7], v[0:1], off glc
	s_waitcnt vmcnt(0)
	global_atomic_cmpswap_x2 v[0:1], v4, v[6:9], s[14:15] offset:24 glc
	s_waitcnt vmcnt(0)
	buffer_invl2
	buffer_wbinvl1_vol
	v_cmp_eq_u64_e32 vcc, v[0:1], v[8:9]
	s_or_b64 s[20:21], vcc, s[20:21]
	s_andn2_b64 exec, exec, s[20:21]
	s_cbranch_execnz .LBB3_148
; %bb.149:
	s_or_b64 exec, exec, s[20:21]
.LBB3_150:
	s_or_b64 exec, exec, s[18:19]
.LBB3_151:
	s_or_b64 exec, exec, s[16:17]
	v_mov_b32_e32 v5, 0
	global_load_dwordx2 v[10:11], v5, s[14:15] offset:40
	global_load_dwordx4 v[6:9], v5, s[14:15]
	v_readfirstlane_b32 s16, v0
	v_readfirstlane_b32 s17, v1
	s_mov_b64 s[18:19], exec
	s_waitcnt vmcnt(1)
	v_readfirstlane_b32 s20, v10
	v_readfirstlane_b32 s21, v11
	s_and_b64 s[20:21], s[16:17], s[20:21]
	s_mul_i32 s11, s21, 24
	s_mul_hi_u32 s22, s20, 24
	s_mul_i32 s23, s20, 24
	s_add_i32 s11, s22, s11
	v_mov_b32_e32 v0, s11
	s_waitcnt vmcnt(0)
	v_add_co_u32_e32 v10, vcc, s23, v6
	v_addc_co_u32_e32 v11, vcc, v7, v0, vcc
	s_and_saveexec_b64 s[22:23], s[2:3]
	s_cbranch_execz .LBB3_153
; %bb.152:
	v_pk_mov_b32 v[12:13], s[18:19], s[18:19] op_sel:[0,1]
	v_mov_b32_e32 v14, 2
	v_mov_b32_e32 v15, 1
	global_store_dwordx4 v[10:11], v[12:15], off offset:8
.LBB3_153:
	s_or_b64 exec, exec, s[22:23]
	s_lshl_b64 s[18:19], s[20:21], 12
	v_mov_b32_e32 v1, s19
	v_add_co_u32_e32 v0, vcc, s18, v8
	v_addc_co_u32_e32 v1, vcc, v9, v1, vcc
	s_add_i32 s11, s10, -1
	s_mov_b32 s20, 0
	s_movk_i32 s18, 0xff1f
	v_and_or_b32 v2, v2, s18, 32
	v_add_co_u32_e32 v8, vcc, v0, v29
	v_mov_b32_e32 v4, s11
	v_readfirstlane_b32 s18, v0
	v_readfirstlane_b32 s19, v1
	s_mov_b32 s21, s20
	v_addc_co_u32_e32 v9, vcc, 0, v1, vcc
	s_mov_b32 s22, s20
	s_mov_b32 s23, s20
	s_nop 0
	global_store_dwordx4 v29, v[2:5], s[18:19]
	v_pk_mov_b32 v[0:1], s[20:21], s[20:21] op_sel:[0,1]
	v_pk_mov_b32 v[2:3], s[22:23], s[22:23] op_sel:[0,1]
	global_store_dwordx4 v29, v[0:3], s[18:19] offset:16
	global_store_dwordx4 v29, v[0:3], s[18:19] offset:32
	global_store_dwordx4 v29, v[0:3], s[18:19] offset:48
	s_and_saveexec_b64 s[18:19], s[2:3]
	s_cbranch_execz .LBB3_161
; %bb.154:
	v_mov_b32_e32 v12, 0
	global_load_dwordx2 v[16:17], v12, s[14:15] offset:32 glc
	global_load_dwordx2 v[0:1], v12, s[14:15] offset:40
	v_mov_b32_e32 v14, s16
	v_mov_b32_e32 v15, s17
	s_waitcnt vmcnt(0)
	v_readfirstlane_b32 s20, v0
	v_readfirstlane_b32 s21, v1
	s_and_b64 s[20:21], s[20:21], s[16:17]
	s_mul_i32 s11, s21, 24
	s_mul_hi_u32 s21, s20, 24
	s_mul_i32 s20, s20, 24
	s_add_i32 s11, s21, s11
	v_mov_b32_e32 v0, s11
	v_add_co_u32_e32 v4, vcc, s20, v6
	v_addc_co_u32_e32 v5, vcc, v7, v0, vcc
	global_store_dwordx2 v[4:5], v[16:17], off
	buffer_wbl2
	s_waitcnt vmcnt(0)
	global_atomic_cmpswap_x2 v[2:3], v12, v[14:17], s[14:15] offset:32 glc
	s_waitcnt vmcnt(0)
	v_cmp_ne_u64_e32 vcc, v[2:3], v[16:17]
	s_and_saveexec_b64 s[20:21], vcc
	s_cbranch_execz .LBB3_157
; %bb.155:
	s_mov_b64 s[22:23], 0
.LBB3_156:                              ; =>This Inner Loop Header: Depth=1
	s_sleep 1
	global_store_dwordx2 v[4:5], v[2:3], off
	v_mov_b32_e32 v0, s16
	v_mov_b32_e32 v1, s17
	buffer_wbl2
	s_waitcnt vmcnt(0)
	global_atomic_cmpswap_x2 v[0:1], v12, v[0:3], s[14:15] offset:32 glc
	s_waitcnt vmcnt(0)
	v_cmp_eq_u64_e32 vcc, v[0:1], v[2:3]
	s_or_b64 s[22:23], vcc, s[22:23]
	v_pk_mov_b32 v[2:3], v[0:1], v[0:1] op_sel:[0,1]
	s_andn2_b64 exec, exec, s[22:23]
	s_cbranch_execnz .LBB3_156
.LBB3_157:
	s_or_b64 exec, exec, s[20:21]
	v_mov_b32_e32 v3, 0
	global_load_dwordx2 v[0:1], v3, s[14:15] offset:16
	s_mov_b64 s[20:21], exec
	v_mbcnt_lo_u32_b32 v2, s20, 0
	v_mbcnt_hi_u32_b32 v2, s21, v2
	v_cmp_eq_u32_e32 vcc, 0, v2
	s_and_saveexec_b64 s[22:23], vcc
	s_cbranch_execz .LBB3_159
; %bb.158:
	s_bcnt1_i32_b64 s11, s[20:21]
	v_mov_b32_e32 v2, s11
	buffer_wbl2
	s_waitcnt vmcnt(0)
	global_atomic_add_x2 v[0:1], v[2:3], off offset:8
.LBB3_159:
	s_or_b64 exec, exec, s[22:23]
	s_waitcnt vmcnt(0)
	global_load_dwordx2 v[2:3], v[0:1], off offset:16
	s_waitcnt vmcnt(0)
	v_cmp_eq_u64_e32 vcc, 0, v[2:3]
	s_cbranch_vccnz .LBB3_161
; %bb.160:
	global_load_dword v0, v[0:1], off offset:24
	v_mov_b32_e32 v1, 0
	buffer_wbl2
	s_waitcnt vmcnt(0)
	global_store_dwordx2 v[2:3], v[0:1], off
	v_and_b32_e32 v0, 0xffffff, v0
	v_readfirstlane_b32 m0, v0
	s_sendmsg sendmsg(MSG_INTERRUPT)
.LBB3_161:
	s_or_b64 exec, exec, s[18:19]
	s_branch .LBB3_165
.LBB3_162:                              ;   in Loop: Header=BB3_165 Depth=1
	s_or_b64 exec, exec, s[18:19]
	v_readfirstlane_b32 s11, v0
	s_cmp_eq_u32 s11, 0
	s_cbranch_scc1 .LBB3_164
; %bb.163:                              ;   in Loop: Header=BB3_165 Depth=1
	s_sleep 1
	s_cbranch_execnz .LBB3_165
	s_branch .LBB3_167
.LBB3_164:
	s_branch .LBB3_167
.LBB3_165:                              ; =>This Inner Loop Header: Depth=1
	v_mov_b32_e32 v0, 1
	s_and_saveexec_b64 s[18:19], s[2:3]
	s_cbranch_execz .LBB3_162
; %bb.166:                              ;   in Loop: Header=BB3_165 Depth=1
	global_load_dword v0, v[10:11], off offset:20 glc
	s_waitcnt vmcnt(0)
	buffer_invl2
	buffer_wbinvl1_vol
	v_and_b32_e32 v0, 1, v0
	s_branch .LBB3_162
.LBB3_167:
	global_load_dwordx2 v[0:1], v[8:9], off
	s_and_saveexec_b64 s[18:19], s[2:3]
	s_cbranch_execz .LBB3_170
; %bb.168:
	v_mov_b32_e32 v8, 0
	global_load_dwordx2 v[6:7], v8, s[14:15] offset:40
	global_load_dwordx2 v[10:11], v8, s[14:15] offset:24 glc
	global_load_dwordx2 v[12:13], v8, s[14:15]
	v_mov_b32_e32 v3, s17
	s_mov_b64 s[2:3], 0
	s_waitcnt vmcnt(2)
	v_add_co_u32_e32 v5, vcc, 1, v6
	v_addc_co_u32_e32 v9, vcc, 0, v7, vcc
	v_add_co_u32_e32 v2, vcc, s16, v5
	v_addc_co_u32_e32 v3, vcc, v9, v3, vcc
	v_cmp_eq_u64_e32 vcc, 0, v[2:3]
	v_cndmask_b32_e32 v3, v3, v9, vcc
	v_cndmask_b32_e32 v2, v2, v5, vcc
	v_and_b32_e32 v5, v3, v7
	v_and_b32_e32 v6, v2, v6
	v_mul_lo_u32 v5, v5, 24
	v_mul_hi_u32 v7, v6, 24
	v_mul_lo_u32 v6, v6, 24
	v_add_u32_e32 v5, v7, v5
	s_waitcnt vmcnt(0)
	v_add_co_u32_e32 v6, vcc, v12, v6
	v_addc_co_u32_e32 v7, vcc, v13, v5, vcc
	v_mov_b32_e32 v4, v10
	global_store_dwordx2 v[6:7], v[10:11], off
	v_mov_b32_e32 v5, v11
	buffer_wbl2
	s_waitcnt vmcnt(0)
	global_atomic_cmpswap_x2 v[4:5], v8, v[2:5], s[14:15] offset:24 glc
	s_waitcnt vmcnt(0)
	v_cmp_ne_u64_e32 vcc, v[4:5], v[10:11]
	s_and_b64 exec, exec, vcc
	s_cbranch_execz .LBB3_170
.LBB3_169:                              ; =>This Inner Loop Header: Depth=1
	s_sleep 1
	global_store_dwordx2 v[6:7], v[4:5], off
	buffer_wbl2
	s_waitcnt vmcnt(0)
	global_atomic_cmpswap_x2 v[10:11], v8, v[2:5], s[14:15] offset:24 glc
	s_waitcnt vmcnt(0)
	v_cmp_eq_u64_e32 vcc, v[10:11], v[4:5]
	s_or_b64 s[2:3], vcc, s[2:3]
	v_pk_mov_b32 v[4:5], v[10:11], v[10:11] op_sel:[0,1]
	s_andn2_b64 exec, exec, s[2:3]
	s_cbranch_execnz .LBB3_169
.LBB3_170:
	s_or_b64 exec, exec, s[18:19]
	v_readfirstlane_b32 s2, v34
	v_cmp_eq_u32_e64 s[2:3], s2, v34
	v_pk_mov_b32 v[8:9], 0, 0
	s_and_saveexec_b64 s[16:17], s[2:3]
	s_cbranch_execz .LBB3_176
; %bb.171:
	v_mov_b32_e32 v2, 0
	global_load_dwordx2 v[6:7], v2, s[14:15] offset:24 glc
	s_waitcnt vmcnt(0)
	buffer_invl2
	buffer_wbinvl1_vol
	global_load_dwordx2 v[4:5], v2, s[14:15] offset:40
	global_load_dwordx2 v[8:9], v2, s[14:15]
	s_waitcnt vmcnt(1)
	v_and_b32_e32 v3, v4, v6
	v_and_b32_e32 v4, v5, v7
	v_mul_lo_u32 v4, v4, 24
	v_mul_hi_u32 v5, v3, 24
	v_mul_lo_u32 v3, v3, 24
	v_add_u32_e32 v5, v5, v4
	s_waitcnt vmcnt(0)
	v_add_co_u32_e32 v4, vcc, v8, v3
	v_addc_co_u32_e32 v5, vcc, v9, v5, vcc
	global_load_dwordx2 v[4:5], v[4:5], off glc
	s_waitcnt vmcnt(0)
	global_atomic_cmpswap_x2 v[8:9], v2, v[4:7], s[14:15] offset:24 glc
	s_waitcnt vmcnt(0)
	buffer_invl2
	buffer_wbinvl1_vol
	v_cmp_ne_u64_e32 vcc, v[8:9], v[6:7]
	s_and_saveexec_b64 s[18:19], vcc
	s_cbranch_execz .LBB3_175
; %bb.172:
	s_mov_b64 s[20:21], 0
.LBB3_173:                              ; =>This Inner Loop Header: Depth=1
	s_sleep 1
	global_load_dwordx2 v[4:5], v2, s[14:15] offset:40
	global_load_dwordx2 v[10:11], v2, s[14:15]
	v_pk_mov_b32 v[6:7], v[8:9], v[8:9] op_sel:[0,1]
	s_waitcnt vmcnt(1)
	v_and_b32_e32 v4, v4, v6
	v_and_b32_e32 v3, v5, v7
	s_waitcnt vmcnt(0)
	v_mad_u64_u32 v[4:5], s[22:23], v4, 24, v[10:11]
	v_mov_b32_e32 v8, v5
	v_mad_u64_u32 v[8:9], s[22:23], v3, 24, v[8:9]
	v_mov_b32_e32 v5, v8
	global_load_dwordx2 v[4:5], v[4:5], off glc
	s_waitcnt vmcnt(0)
	global_atomic_cmpswap_x2 v[8:9], v2, v[4:7], s[14:15] offset:24 glc
	s_waitcnt vmcnt(0)
	buffer_invl2
	buffer_wbinvl1_vol
	v_cmp_eq_u64_e32 vcc, v[8:9], v[6:7]
	s_or_b64 s[20:21], vcc, s[20:21]
	s_andn2_b64 exec, exec, s[20:21]
	s_cbranch_execnz .LBB3_173
; %bb.174:
	s_or_b64 exec, exec, s[20:21]
.LBB3_175:
	s_or_b64 exec, exec, s[18:19]
.LBB3_176:
	s_or_b64 exec, exec, s[16:17]
	v_mov_b32_e32 v3, 0
	global_load_dwordx2 v[10:11], v3, s[14:15] offset:40
	global_load_dwordx4 v[4:7], v3, s[14:15]
	v_readfirstlane_b32 s16, v8
	v_readfirstlane_b32 s17, v9
	s_mov_b64 s[18:19], exec
	s_waitcnt vmcnt(1)
	v_readfirstlane_b32 s20, v10
	v_readfirstlane_b32 s21, v11
	s_and_b64 s[20:21], s[16:17], s[20:21]
	s_mul_i32 s11, s21, 24
	s_mul_hi_u32 s22, s20, 24
	s_mul_i32 s23, s20, 24
	s_add_i32 s11, s22, s11
	v_mov_b32_e32 v2, s11
	s_waitcnt vmcnt(0)
	v_add_co_u32_e32 v8, vcc, s23, v4
	v_addc_co_u32_e32 v9, vcc, v5, v2, vcc
	s_and_saveexec_b64 s[22:23], s[2:3]
	s_cbranch_execz .LBB3_178
; %bb.177:
	v_pk_mov_b32 v[10:11], s[18:19], s[18:19] op_sel:[0,1]
	v_mov_b32_e32 v12, 2
	v_mov_b32_e32 v13, 1
	global_store_dwordx4 v[8:9], v[10:13], off offset:8
.LBB3_178:
	s_or_b64 exec, exec, s[22:23]
	s_lshl_b64 s[18:19], s[20:21], 12
	v_mov_b32_e32 v2, s19
	v_add_co_u32_e32 v6, vcc, s18, v6
	v_addc_co_u32_e32 v7, vcc, v7, v2, vcc
	v_cndmask_b32_e64 v2, -1, v35, s[0:1]
	s_movk_i32 s0, 0xff1d
	s_mov_b32 s20, 0
	v_and_or_b32 v0, v0, s0, 34
	v_readfirstlane_b32 s0, v6
	v_readfirstlane_b32 s1, v7
	s_mov_b32 s21, s20
	s_mov_b32 s22, s20
	;; [unrolled: 1-line block ×3, first 2 shown]
	s_nop 1
	global_store_dwordx4 v29, v[0:3], s[0:1]
	s_nop 0
	v_pk_mov_b32 v[0:1], s[20:21], s[20:21] op_sel:[0,1]
	v_pk_mov_b32 v[2:3], s[22:23], s[22:23] op_sel:[0,1]
	global_store_dwordx4 v29, v[0:3], s[0:1] offset:16
	global_store_dwordx4 v29, v[0:3], s[0:1] offset:32
	global_store_dwordx4 v29, v[0:3], s[0:1] offset:48
	s_and_saveexec_b64 s[0:1], s[2:3]
	s_cbranch_execz .LBB3_186
; %bb.179:
	v_mov_b32_e32 v6, 0
	global_load_dwordx2 v[12:13], v6, s[14:15] offset:32 glc
	global_load_dwordx2 v[0:1], v6, s[14:15] offset:40
	v_mov_b32_e32 v10, s16
	v_mov_b32_e32 v11, s17
	s_waitcnt vmcnt(0)
	v_readfirstlane_b32 s18, v0
	v_readfirstlane_b32 s19, v1
	s_and_b64 s[18:19], s[18:19], s[16:17]
	s_mul_i32 s11, s19, 24
	s_mul_hi_u32 s19, s18, 24
	s_mul_i32 s18, s18, 24
	s_add_i32 s11, s19, s11
	v_mov_b32_e32 v0, s11
	v_add_co_u32_e32 v4, vcc, s18, v4
	v_addc_co_u32_e32 v5, vcc, v5, v0, vcc
	global_store_dwordx2 v[4:5], v[12:13], off
	buffer_wbl2
	s_waitcnt vmcnt(0)
	global_atomic_cmpswap_x2 v[2:3], v6, v[10:13], s[14:15] offset:32 glc
	s_waitcnt vmcnt(0)
	v_cmp_ne_u64_e32 vcc, v[2:3], v[12:13]
	s_and_saveexec_b64 s[18:19], vcc
	s_cbranch_execz .LBB3_182
; %bb.180:
	s_mov_b64 s[20:21], 0
.LBB3_181:                              ; =>This Inner Loop Header: Depth=1
	s_sleep 1
	global_store_dwordx2 v[4:5], v[2:3], off
	v_mov_b32_e32 v0, s16
	v_mov_b32_e32 v1, s17
	buffer_wbl2
	s_waitcnt vmcnt(0)
	global_atomic_cmpswap_x2 v[0:1], v6, v[0:3], s[14:15] offset:32 glc
	s_waitcnt vmcnt(0)
	v_cmp_eq_u64_e32 vcc, v[0:1], v[2:3]
	s_or_b64 s[20:21], vcc, s[20:21]
	v_pk_mov_b32 v[2:3], v[0:1], v[0:1] op_sel:[0,1]
	s_andn2_b64 exec, exec, s[20:21]
	s_cbranch_execnz .LBB3_181
.LBB3_182:
	s_or_b64 exec, exec, s[18:19]
	v_mov_b32_e32 v3, 0
	global_load_dwordx2 v[0:1], v3, s[14:15] offset:16
	s_mov_b64 s[18:19], exec
	v_mbcnt_lo_u32_b32 v2, s18, 0
	v_mbcnt_hi_u32_b32 v2, s19, v2
	v_cmp_eq_u32_e32 vcc, 0, v2
	s_and_saveexec_b64 s[20:21], vcc
	s_cbranch_execz .LBB3_184
; %bb.183:
	s_bcnt1_i32_b64 s11, s[18:19]
	v_mov_b32_e32 v2, s11
	buffer_wbl2
	s_waitcnt vmcnt(0)
	global_atomic_add_x2 v[0:1], v[2:3], off offset:8
.LBB3_184:
	s_or_b64 exec, exec, s[20:21]
	s_waitcnt vmcnt(0)
	global_load_dwordx2 v[2:3], v[0:1], off offset:16
	s_waitcnt vmcnt(0)
	v_cmp_eq_u64_e32 vcc, 0, v[2:3]
	s_cbranch_vccnz .LBB3_186
; %bb.185:
	global_load_dword v0, v[0:1], off offset:24
	v_mov_b32_e32 v1, 0
	buffer_wbl2
	s_waitcnt vmcnt(0)
	global_store_dwordx2 v[2:3], v[0:1], off
	v_and_b32_e32 v0, 0xffffff, v0
	v_readfirstlane_b32 m0, v0
	s_sendmsg sendmsg(MSG_INTERRUPT)
.LBB3_186:
	s_or_b64 exec, exec, s[0:1]
	s_branch .LBB3_190
.LBB3_187:                              ;   in Loop: Header=BB3_190 Depth=1
	s_or_b64 exec, exec, s[0:1]
	v_readfirstlane_b32 s0, v0
	s_cmp_eq_u32 s0, 0
	s_cbranch_scc1 .LBB3_189
; %bb.188:                              ;   in Loop: Header=BB3_190 Depth=1
	s_sleep 1
	s_cbranch_execnz .LBB3_190
	s_branch .LBB3_192
.LBB3_189:
	s_branch .LBB3_192
.LBB3_190:                              ; =>This Inner Loop Header: Depth=1
	v_mov_b32_e32 v0, 1
	s_and_saveexec_b64 s[0:1], s[2:3]
	s_cbranch_execz .LBB3_187
; %bb.191:                              ;   in Loop: Header=BB3_190 Depth=1
	global_load_dword v0, v[8:9], off offset:20 glc
	s_waitcnt vmcnt(0)
	buffer_invl2
	buffer_wbinvl1_vol
	v_and_b32_e32 v0, 1, v0
	s_branch .LBB3_187
.LBB3_192:
	s_and_saveexec_b64 s[0:1], s[2:3]
	s_cbranch_execz .LBB3_195
; %bb.193:
	v_mov_b32_e32 v6, 0
	global_load_dwordx2 v[4:5], v6, s[14:15] offset:40
	global_load_dwordx2 v[8:9], v6, s[14:15] offset:24 glc
	global_load_dwordx2 v[10:11], v6, s[14:15]
	v_mov_b32_e32 v1, s17
	s_mov_b64 s[2:3], 0
	s_waitcnt vmcnt(2)
	v_add_co_u32_e32 v3, vcc, 1, v4
	v_addc_co_u32_e32 v7, vcc, 0, v5, vcc
	v_add_co_u32_e32 v0, vcc, s16, v3
	v_addc_co_u32_e32 v1, vcc, v7, v1, vcc
	v_cmp_eq_u64_e32 vcc, 0, v[0:1]
	v_cndmask_b32_e32 v1, v1, v7, vcc
	v_cndmask_b32_e32 v0, v0, v3, vcc
	v_and_b32_e32 v3, v1, v5
	v_and_b32_e32 v4, v0, v4
	v_mul_lo_u32 v3, v3, 24
	v_mul_hi_u32 v5, v4, 24
	v_mul_lo_u32 v4, v4, 24
	v_add_u32_e32 v3, v5, v3
	s_waitcnt vmcnt(0)
	v_add_co_u32_e32 v4, vcc, v10, v4
	v_addc_co_u32_e32 v5, vcc, v11, v3, vcc
	v_mov_b32_e32 v2, v8
	global_store_dwordx2 v[4:5], v[8:9], off
	v_mov_b32_e32 v3, v9
	buffer_wbl2
	s_waitcnt vmcnt(0)
	global_atomic_cmpswap_x2 v[2:3], v6, v[0:3], s[14:15] offset:24 glc
	s_waitcnt vmcnt(0)
	v_cmp_ne_u64_e32 vcc, v[2:3], v[8:9]
	s_and_b64 exec, exec, vcc
	s_cbranch_execz .LBB3_195
.LBB3_194:                              ; =>This Inner Loop Header: Depth=1
	s_sleep 1
	global_store_dwordx2 v[4:5], v[2:3], off
	buffer_wbl2
	s_waitcnt vmcnt(0)
	global_atomic_cmpswap_x2 v[8:9], v6, v[0:3], s[14:15] offset:24 glc
	s_waitcnt vmcnt(0)
	v_cmp_eq_u64_e32 vcc, v[8:9], v[2:3]
	s_or_b64 s[2:3], vcc, s[2:3]
	v_pk_mov_b32 v[2:3], v[8:9], v[8:9] op_sel:[0,1]
	s_andn2_b64 exec, exec, s[2:3]
	s_cbranch_execnz .LBB3_194
.LBB3_195:
	s_or_b64 exec, exec, s[0:1]
	v_cvt_f32_u32_e32 v0, s30
	s_sub_i32 s2, 0, s30
	v_readfirstlane_b32 s0, v34
	v_cmp_eq_u32_e64 s[0:1], s0, v34
	v_rcp_iflag_f32_e32 v0, v0
	v_pk_mov_b32 v[6:7], 0, 0
	v_mul_f32_e32 v0, 0x4f7ffffe, v0
	v_cvt_u32_f32_e32 v0, v0
	v_readfirstlane_b32 s11, v0
	s_mul_i32 s2, s2, s11
	s_mul_hi_u32 s20, s11, s2
	s_and_saveexec_b64 s[2:3], s[0:1]
	s_cbranch_execz .LBB3_201
; %bb.196:
	v_mov_b32_e32 v0, 0
	global_load_dwordx2 v[4:5], v0, s[14:15] offset:24 glc
	s_waitcnt vmcnt(0)
	buffer_invl2
	buffer_wbinvl1_vol
	global_load_dwordx2 v[2:3], v0, s[14:15] offset:40
	global_load_dwordx2 v[6:7], v0, s[14:15]
	s_waitcnt vmcnt(1)
	v_and_b32_e32 v1, v2, v4
	v_and_b32_e32 v2, v3, v5
	v_mul_lo_u32 v2, v2, 24
	v_mul_hi_u32 v3, v1, 24
	v_mul_lo_u32 v1, v1, 24
	v_add_u32_e32 v3, v3, v2
	s_waitcnt vmcnt(0)
	v_add_co_u32_e32 v2, vcc, v6, v1
	v_addc_co_u32_e32 v3, vcc, v7, v3, vcc
	global_load_dwordx2 v[2:3], v[2:3], off glc
	s_waitcnt vmcnt(0)
	global_atomic_cmpswap_x2 v[6:7], v0, v[2:5], s[14:15] offset:24 glc
	s_waitcnt vmcnt(0)
	buffer_invl2
	buffer_wbinvl1_vol
	v_cmp_ne_u64_e32 vcc, v[6:7], v[4:5]
	s_and_saveexec_b64 s[16:17], vcc
	s_cbranch_execz .LBB3_200
; %bb.197:
	s_mov_b64 s[18:19], 0
.LBB3_198:                              ; =>This Inner Loop Header: Depth=1
	s_sleep 1
	global_load_dwordx2 v[2:3], v0, s[14:15] offset:40
	global_load_dwordx2 v[8:9], v0, s[14:15]
	v_pk_mov_b32 v[4:5], v[6:7], v[6:7] op_sel:[0,1]
	s_waitcnt vmcnt(1)
	v_and_b32_e32 v2, v2, v4
	v_and_b32_e32 v1, v3, v5
	s_waitcnt vmcnt(0)
	v_mad_u64_u32 v[2:3], s[22:23], v2, 24, v[8:9]
	v_mov_b32_e32 v6, v3
	v_mad_u64_u32 v[6:7], s[22:23], v1, 24, v[6:7]
	v_mov_b32_e32 v3, v6
	global_load_dwordx2 v[2:3], v[2:3], off glc
	s_waitcnt vmcnt(0)
	global_atomic_cmpswap_x2 v[6:7], v0, v[2:5], s[14:15] offset:24 glc
	s_waitcnt vmcnt(0)
	buffer_invl2
	buffer_wbinvl1_vol
	v_cmp_eq_u64_e32 vcc, v[6:7], v[4:5]
	s_or_b64 s[18:19], vcc, s[18:19]
	s_andn2_b64 exec, exec, s[18:19]
	s_cbranch_execnz .LBB3_198
; %bb.199:
	s_or_b64 exec, exec, s[18:19]
.LBB3_200:
	s_or_b64 exec, exec, s[16:17]
.LBB3_201:
	s_or_b64 exec, exec, s[2:3]
	v_mov_b32_e32 v5, 0
	global_load_dwordx2 v[8:9], v5, s[14:15] offset:40
	global_load_dwordx4 v[0:3], v5, s[14:15]
	v_readfirstlane_b32 s2, v6
	v_readfirstlane_b32 s3, v7
	s_add_i32 s11, s11, s20
	s_mov_b64 s[16:17], exec
	s_waitcnt vmcnt(1)
	v_readfirstlane_b32 s18, v8
	v_readfirstlane_b32 s19, v9
	s_and_b64 s[18:19], s[2:3], s[18:19]
	s_mul_i32 s20, s19, 24
	s_mul_hi_u32 s21, s18, 24
	s_mul_i32 s22, s18, 24
	s_add_i32 s20, s21, s20
	v_mov_b32_e32 v4, s20
	s_waitcnt vmcnt(0)
	v_add_co_u32_e32 v8, vcc, s22, v0
	v_addc_co_u32_e32 v9, vcc, v1, v4, vcc
	s_and_saveexec_b64 s[20:21], s[0:1]
	s_cbranch_execz .LBB3_203
; %bb.202:
	v_pk_mov_b32 v[10:11], s[16:17], s[16:17] op_sel:[0,1]
	v_mov_b32_e32 v12, 2
	v_mov_b32_e32 v13, 1
	global_store_dwordx4 v[8:9], v[10:13], off offset:8
.LBB3_203:
	s_or_b64 exec, exec, s[20:21]
	s_lshl_b64 s[16:17], s[18:19], 12
	v_mov_b32_e32 v4, s17
	v_add_co_u32_e32 v2, vcc, s16, v2
	v_addc_co_u32_e32 v3, vcc, v3, v4, vcc
	s_mov_b32 s16, 0
	v_add_co_u32_e32 v10, vcc, v2, v29
	v_mov_b32_e32 v4, 33
	v_mov_b32_e32 v6, v5
	;; [unrolled: 1-line block ×3, first 2 shown]
	v_readfirstlane_b32 s20, v2
	v_readfirstlane_b32 s21, v3
	s_mov_b32 s17, s16
	v_addc_co_u32_e32 v11, vcc, 0, v3, vcc
	s_mov_b32 s18, s16
	s_mov_b32 s19, s16
	s_nop 0
	global_store_dwordx4 v29, v[4:7], s[20:21]
	v_pk_mov_b32 v[2:3], s[16:17], s[16:17] op_sel:[0,1]
	s_mul_hi_u32 s11, s10, s11
	v_pk_mov_b32 v[4:5], s[18:19], s[18:19] op_sel:[0,1]
	global_store_dwordx4 v29, v[2:5], s[20:21] offset:16
	global_store_dwordx4 v29, v[2:5], s[20:21] offset:32
	;; [unrolled: 1-line block ×3, first 2 shown]
	s_and_saveexec_b64 s[16:17], s[0:1]
	s_cbranch_execz .LBB3_211
; %bb.204:
	v_mov_b32_e32 v6, 0
	global_load_dwordx2 v[14:15], v6, s[14:15] offset:32 glc
	global_load_dwordx2 v[2:3], v6, s[14:15] offset:40
	v_mov_b32_e32 v12, s2
	v_mov_b32_e32 v13, s3
	s_waitcnt vmcnt(0)
	v_readfirstlane_b32 s18, v2
	v_readfirstlane_b32 s19, v3
	s_and_b64 s[18:19], s[18:19], s[2:3]
	s_mul_i32 s19, s19, 24
	s_mul_hi_u32 s20, s18, 24
	s_mul_i32 s18, s18, 24
	s_add_i32 s19, s20, s19
	v_mov_b32_e32 v2, s19
	v_add_co_u32_e32 v4, vcc, s18, v0
	v_addc_co_u32_e32 v5, vcc, v1, v2, vcc
	global_store_dwordx2 v[4:5], v[14:15], off
	buffer_wbl2
	s_waitcnt vmcnt(0)
	global_atomic_cmpswap_x2 v[2:3], v6, v[12:15], s[14:15] offset:32 glc
	s_waitcnt vmcnt(0)
	v_cmp_ne_u64_e32 vcc, v[2:3], v[14:15]
	s_and_saveexec_b64 s[18:19], vcc
	s_cbranch_execz .LBB3_207
; %bb.205:
	s_mov_b64 s[20:21], 0
.LBB3_206:                              ; =>This Inner Loop Header: Depth=1
	s_sleep 1
	global_store_dwordx2 v[4:5], v[2:3], off
	v_mov_b32_e32 v0, s2
	v_mov_b32_e32 v1, s3
	buffer_wbl2
	s_waitcnt vmcnt(0)
	global_atomic_cmpswap_x2 v[0:1], v6, v[0:3], s[14:15] offset:32 glc
	s_waitcnt vmcnt(0)
	v_cmp_eq_u64_e32 vcc, v[0:1], v[2:3]
	s_or_b64 s[20:21], vcc, s[20:21]
	v_pk_mov_b32 v[2:3], v[0:1], v[0:1] op_sel:[0,1]
	s_andn2_b64 exec, exec, s[20:21]
	s_cbranch_execnz .LBB3_206
.LBB3_207:
	s_or_b64 exec, exec, s[18:19]
	v_mov_b32_e32 v3, 0
	global_load_dwordx2 v[0:1], v3, s[14:15] offset:16
	s_mov_b64 s[18:19], exec
	v_mbcnt_lo_u32_b32 v2, s18, 0
	v_mbcnt_hi_u32_b32 v2, s19, v2
	v_cmp_eq_u32_e32 vcc, 0, v2
	s_and_saveexec_b64 s[20:21], vcc
	s_cbranch_execz .LBB3_209
; %bb.208:
	s_bcnt1_i32_b64 s18, s[18:19]
	v_mov_b32_e32 v2, s18
	buffer_wbl2
	s_waitcnt vmcnt(0)
	global_atomic_add_x2 v[0:1], v[2:3], off offset:8
.LBB3_209:
	s_or_b64 exec, exec, s[20:21]
	s_waitcnt vmcnt(0)
	global_load_dwordx2 v[2:3], v[0:1], off offset:16
	s_waitcnt vmcnt(0)
	v_cmp_eq_u64_e32 vcc, 0, v[2:3]
	s_cbranch_vccnz .LBB3_211
; %bb.210:
	global_load_dword v0, v[0:1], off offset:24
	v_mov_b32_e32 v1, 0
	buffer_wbl2
	s_waitcnt vmcnt(0)
	global_store_dwordx2 v[2:3], v[0:1], off
	v_and_b32_e32 v0, 0xffffff, v0
	v_readfirstlane_b32 m0, v0
	s_sendmsg sendmsg(MSG_INTERRUPT)
.LBB3_211:
	s_or_b64 exec, exec, s[16:17]
	s_branch .LBB3_215
.LBB3_212:                              ;   in Loop: Header=BB3_215 Depth=1
	s_or_b64 exec, exec, s[16:17]
	v_readfirstlane_b32 s16, v0
	s_cmp_eq_u32 s16, 0
	s_cbranch_scc1 .LBB3_214
; %bb.213:                              ;   in Loop: Header=BB3_215 Depth=1
	s_sleep 1
	s_cbranch_execnz .LBB3_215
	s_branch .LBB3_217
.LBB3_214:
	s_branch .LBB3_217
.LBB3_215:                              ; =>This Inner Loop Header: Depth=1
	v_mov_b32_e32 v0, 1
	s_and_saveexec_b64 s[16:17], s[0:1]
	s_cbranch_execz .LBB3_212
; %bb.216:                              ;   in Loop: Header=BB3_215 Depth=1
	global_load_dword v0, v[8:9], off offset:20 glc
	s_waitcnt vmcnt(0)
	buffer_invl2
	buffer_wbinvl1_vol
	v_and_b32_e32 v0, 1, v0
	s_branch .LBB3_212
.LBB3_217:
	global_load_dwordx2 v[0:1], v[10:11], off
	s_and_saveexec_b64 s[16:17], s[0:1]
	s_cbranch_execz .LBB3_220
; %bb.218:
	v_mov_b32_e32 v8, 0
	global_load_dwordx2 v[6:7], v8, s[14:15] offset:40
	global_load_dwordx2 v[10:11], v8, s[14:15] offset:24 glc
	global_load_dwordx2 v[12:13], v8, s[14:15]
	v_mov_b32_e32 v3, s3
	s_mov_b64 s[0:1], 0
	s_waitcnt vmcnt(2)
	v_add_co_u32_e32 v5, vcc, 1, v6
	v_addc_co_u32_e32 v9, vcc, 0, v7, vcc
	v_add_co_u32_e32 v2, vcc, s2, v5
	v_addc_co_u32_e32 v3, vcc, v9, v3, vcc
	v_cmp_eq_u64_e32 vcc, 0, v[2:3]
	v_cndmask_b32_e32 v3, v3, v9, vcc
	v_cndmask_b32_e32 v2, v2, v5, vcc
	v_and_b32_e32 v5, v3, v7
	v_and_b32_e32 v6, v2, v6
	v_mul_lo_u32 v5, v5, 24
	v_mul_hi_u32 v7, v6, 24
	v_mul_lo_u32 v6, v6, 24
	v_add_u32_e32 v5, v7, v5
	s_waitcnt vmcnt(0)
	v_add_co_u32_e32 v6, vcc, v12, v6
	v_addc_co_u32_e32 v7, vcc, v13, v5, vcc
	v_mov_b32_e32 v4, v10
	global_store_dwordx2 v[6:7], v[10:11], off
	v_mov_b32_e32 v5, v11
	buffer_wbl2
	s_waitcnt vmcnt(0)
	global_atomic_cmpswap_x2 v[4:5], v8, v[2:5], s[14:15] offset:24 glc
	s_waitcnt vmcnt(0)
	v_cmp_ne_u64_e32 vcc, v[4:5], v[10:11]
	s_and_b64 exec, exec, vcc
	s_cbranch_execz .LBB3_220
.LBB3_219:                              ; =>This Inner Loop Header: Depth=1
	s_sleep 1
	global_store_dwordx2 v[6:7], v[4:5], off
	buffer_wbl2
	s_waitcnt vmcnt(0)
	global_atomic_cmpswap_x2 v[10:11], v8, v[2:5], s[14:15] offset:24 glc
	s_waitcnt vmcnt(0)
	v_cmp_eq_u64_e32 vcc, v[10:11], v[4:5]
	s_or_b64 s[0:1], vcc, s[0:1]
	v_pk_mov_b32 v[4:5], v[10:11], v[10:11] op_sel:[0,1]
	s_andn2_b64 exec, exec, s[0:1]
	s_cbranch_execnz .LBB3_219
.LBB3_220:
	s_or_b64 exec, exec, s[16:17]
	s_getpc_b64 s[2:3]
	s_add_u32 s2, s2, .str.1@rel32@lo+4
	s_addc_u32 s3, s3, .str.1@rel32@hi+12
	s_cmp_lg_u64 s[2:3], 0
	s_cbranch_scc0 .LBB3_305
; %bb.221:
	s_waitcnt vmcnt(0)
	v_and_b32_e32 v28, 2, v0
	v_mov_b32_e32 v31, 0
	v_and_b32_e32 v2, -3, v0
	v_mov_b32_e32 v3, v1
	s_mov_b64 s[16:17], 48
	v_mov_b32_e32 v6, 2
	v_mov_b32_e32 v7, 1
	s_branch .LBB3_223
.LBB3_222:                              ;   in Loop: Header=BB3_223 Depth=1
	s_or_b64 exec, exec, s[22:23]
	s_sub_u32 s16, s16, s18
	s_subb_u32 s17, s17, s19
	s_add_u32 s2, s2, s18
	s_addc_u32 s3, s3, s19
	s_cmp_lg_u64 s[16:17], 0
	s_cbranch_scc0 .LBB3_304
.LBB3_223:                              ; =>This Loop Header: Depth=1
                                        ;     Child Loop BB3_226 Depth 2
                                        ;     Child Loop BB3_233 Depth 2
	;; [unrolled: 1-line block ×11, first 2 shown]
	v_cmp_lt_u64_e64 s[0:1], s[16:17], 56
	s_and_b64 s[0:1], s[0:1], exec
	v_cmp_gt_u64_e64 s[0:1], s[16:17], 7
	s_cselect_b32 s19, s17, 0
	s_cselect_b32 s18, s16, 56
	s_and_b64 vcc, exec, s[0:1]
	s_cbranch_vccnz .LBB3_228
; %bb.224:                              ;   in Loop: Header=BB3_223 Depth=1
	s_mov_b64 s[0:1], 0
	s_cmp_eq_u64 s[16:17], 0
	v_pk_mov_b32 v[10:11], 0, 0
	s_cbranch_scc1 .LBB3_227
; %bb.225:                              ;   in Loop: Header=BB3_223 Depth=1
	s_lshl_b64 s[20:21], s[18:19], 3
	s_mov_b64 s[22:23], 0
	v_pk_mov_b32 v[10:11], 0, 0
	s_mov_b64 s[24:25], s[2:3]
.LBB3_226:                              ;   Parent Loop BB3_223 Depth=1
                                        ; =>  This Inner Loop Header: Depth=2
	global_load_ubyte v4, v31, s[24:25]
	s_waitcnt vmcnt(0)
	v_and_b32_e32 v30, 0xffff, v4
	v_lshlrev_b64 v[4:5], s22, v[30:31]
	s_add_u32 s22, s22, 8
	s_addc_u32 s23, s23, 0
	s_add_u32 s24, s24, 1
	s_addc_u32 s25, s25, 0
	v_or_b32_e32 v10, v4, v10
	s_cmp_lg_u32 s20, s22
	v_or_b32_e32 v11, v5, v11
	s_cbranch_scc1 .LBB3_226
.LBB3_227:                              ;   in Loop: Header=BB3_223 Depth=1
	s_mov_b32 s24, 0
	s_andn2_b64 vcc, exec, s[0:1]
	s_mov_b64 s[0:1], s[2:3]
	s_cbranch_vccz .LBB3_229
	s_branch .LBB3_230
.LBB3_228:                              ;   in Loop: Header=BB3_223 Depth=1
                                        ; implicit-def: $vgpr10_vgpr11
                                        ; implicit-def: $sgpr24
	s_mov_b64 s[0:1], s[2:3]
.LBB3_229:                              ;   in Loop: Header=BB3_223 Depth=1
	global_load_dwordx2 v[10:11], v31, s[2:3]
	s_add_i32 s24, s18, -8
	s_add_u32 s0, s2, 8
	s_addc_u32 s1, s3, 0
.LBB3_230:                              ;   in Loop: Header=BB3_223 Depth=1
	s_cmp_gt_u32 s24, 7
	s_cbranch_scc1 .LBB3_234
; %bb.231:                              ;   in Loop: Header=BB3_223 Depth=1
	s_cmp_eq_u32 s24, 0
	s_cbranch_scc1 .LBB3_235
; %bb.232:                              ;   in Loop: Header=BB3_223 Depth=1
	s_mov_b64 s[20:21], 0
	v_pk_mov_b32 v[12:13], 0, 0
	s_mov_b64 s[22:23], 0
.LBB3_233:                              ;   Parent Loop BB3_223 Depth=1
                                        ; =>  This Inner Loop Header: Depth=2
	s_add_u32 s26, s0, s22
	s_addc_u32 s27, s1, s23
	global_load_ubyte v4, v31, s[26:27]
	s_add_u32 s22, s22, 1
	s_addc_u32 s23, s23, 0
	s_waitcnt vmcnt(0)
	v_and_b32_e32 v30, 0xffff, v4
	v_lshlrev_b64 v[4:5], s20, v[30:31]
	s_add_u32 s20, s20, 8
	s_addc_u32 s21, s21, 0
	v_or_b32_e32 v12, v4, v12
	s_cmp_lg_u32 s24, s22
	v_or_b32_e32 v13, v5, v13
	s_cbranch_scc1 .LBB3_233
	s_branch .LBB3_236
.LBB3_234:                              ;   in Loop: Header=BB3_223 Depth=1
                                        ; implicit-def: $vgpr12_vgpr13
                                        ; implicit-def: $sgpr25
	s_branch .LBB3_237
.LBB3_235:                              ;   in Loop: Header=BB3_223 Depth=1
	v_pk_mov_b32 v[12:13], 0, 0
.LBB3_236:                              ;   in Loop: Header=BB3_223 Depth=1
	s_mov_b32 s25, 0
	s_cbranch_execnz .LBB3_238
.LBB3_237:                              ;   in Loop: Header=BB3_223 Depth=1
	global_load_dwordx2 v[12:13], v31, s[0:1]
	s_add_i32 s25, s24, -8
	s_add_u32 s0, s0, 8
	s_addc_u32 s1, s1, 0
.LBB3_238:                              ;   in Loop: Header=BB3_223 Depth=1
	s_cmp_gt_u32 s25, 7
	s_cbranch_scc1 .LBB3_242
; %bb.239:                              ;   in Loop: Header=BB3_223 Depth=1
	s_cmp_eq_u32 s25, 0
	s_cbranch_scc1 .LBB3_243
; %bb.240:                              ;   in Loop: Header=BB3_223 Depth=1
	s_mov_b64 s[20:21], 0
	v_pk_mov_b32 v[14:15], 0, 0
	s_mov_b64 s[22:23], 0
.LBB3_241:                              ;   Parent Loop BB3_223 Depth=1
                                        ; =>  This Inner Loop Header: Depth=2
	s_add_u32 s26, s0, s22
	s_addc_u32 s27, s1, s23
	global_load_ubyte v4, v31, s[26:27]
	s_add_u32 s22, s22, 1
	s_addc_u32 s23, s23, 0
	s_waitcnt vmcnt(0)
	v_and_b32_e32 v30, 0xffff, v4
	v_lshlrev_b64 v[4:5], s20, v[30:31]
	s_add_u32 s20, s20, 8
	s_addc_u32 s21, s21, 0
	v_or_b32_e32 v14, v4, v14
	s_cmp_lg_u32 s25, s22
	v_or_b32_e32 v15, v5, v15
	s_cbranch_scc1 .LBB3_241
	s_branch .LBB3_244
.LBB3_242:                              ;   in Loop: Header=BB3_223 Depth=1
                                        ; implicit-def: $sgpr24
	s_branch .LBB3_245
.LBB3_243:                              ;   in Loop: Header=BB3_223 Depth=1
	v_pk_mov_b32 v[14:15], 0, 0
.LBB3_244:                              ;   in Loop: Header=BB3_223 Depth=1
	s_mov_b32 s24, 0
	s_cbranch_execnz .LBB3_246
.LBB3_245:                              ;   in Loop: Header=BB3_223 Depth=1
	global_load_dwordx2 v[14:15], v31, s[0:1]
	s_add_i32 s24, s25, -8
	s_add_u32 s0, s0, 8
	s_addc_u32 s1, s1, 0
.LBB3_246:                              ;   in Loop: Header=BB3_223 Depth=1
	s_cmp_gt_u32 s24, 7
	s_cbranch_scc1 .LBB3_250
; %bb.247:                              ;   in Loop: Header=BB3_223 Depth=1
	s_cmp_eq_u32 s24, 0
	s_cbranch_scc1 .LBB3_251
; %bb.248:                              ;   in Loop: Header=BB3_223 Depth=1
	s_mov_b64 s[20:21], 0
	v_pk_mov_b32 v[16:17], 0, 0
	s_mov_b64 s[22:23], 0
.LBB3_249:                              ;   Parent Loop BB3_223 Depth=1
                                        ; =>  This Inner Loop Header: Depth=2
	s_add_u32 s26, s0, s22
	s_addc_u32 s27, s1, s23
	global_load_ubyte v4, v31, s[26:27]
	s_add_u32 s22, s22, 1
	s_addc_u32 s23, s23, 0
	s_waitcnt vmcnt(0)
	v_and_b32_e32 v30, 0xffff, v4
	v_lshlrev_b64 v[4:5], s20, v[30:31]
	s_add_u32 s20, s20, 8
	s_addc_u32 s21, s21, 0
	v_or_b32_e32 v16, v4, v16
	s_cmp_lg_u32 s24, s22
	v_or_b32_e32 v17, v5, v17
	s_cbranch_scc1 .LBB3_249
	s_branch .LBB3_252
.LBB3_250:                              ;   in Loop: Header=BB3_223 Depth=1
                                        ; implicit-def: $vgpr16_vgpr17
                                        ; implicit-def: $sgpr25
	s_branch .LBB3_253
.LBB3_251:                              ;   in Loop: Header=BB3_223 Depth=1
	v_pk_mov_b32 v[16:17], 0, 0
.LBB3_252:                              ;   in Loop: Header=BB3_223 Depth=1
	s_mov_b32 s25, 0
	s_cbranch_execnz .LBB3_254
.LBB3_253:                              ;   in Loop: Header=BB3_223 Depth=1
	global_load_dwordx2 v[16:17], v31, s[0:1]
	s_add_i32 s25, s24, -8
	s_add_u32 s0, s0, 8
	s_addc_u32 s1, s1, 0
.LBB3_254:                              ;   in Loop: Header=BB3_223 Depth=1
	s_cmp_gt_u32 s25, 7
	s_cbranch_scc1 .LBB3_258
; %bb.255:                              ;   in Loop: Header=BB3_223 Depth=1
	s_cmp_eq_u32 s25, 0
	s_cbranch_scc1 .LBB3_259
; %bb.256:                              ;   in Loop: Header=BB3_223 Depth=1
	s_mov_b64 s[20:21], 0
	v_pk_mov_b32 v[18:19], 0, 0
	s_mov_b64 s[22:23], 0
.LBB3_257:                              ;   Parent Loop BB3_223 Depth=1
                                        ; =>  This Inner Loop Header: Depth=2
	s_add_u32 s26, s0, s22
	s_addc_u32 s27, s1, s23
	global_load_ubyte v4, v31, s[26:27]
	s_add_u32 s22, s22, 1
	s_addc_u32 s23, s23, 0
	s_waitcnt vmcnt(0)
	v_and_b32_e32 v30, 0xffff, v4
	v_lshlrev_b64 v[4:5], s20, v[30:31]
	s_add_u32 s20, s20, 8
	s_addc_u32 s21, s21, 0
	v_or_b32_e32 v18, v4, v18
	s_cmp_lg_u32 s25, s22
	v_or_b32_e32 v19, v5, v19
	s_cbranch_scc1 .LBB3_257
	s_branch .LBB3_260
.LBB3_258:                              ;   in Loop: Header=BB3_223 Depth=1
                                        ; implicit-def: $sgpr24
	s_branch .LBB3_261
.LBB3_259:                              ;   in Loop: Header=BB3_223 Depth=1
	v_pk_mov_b32 v[18:19], 0, 0
.LBB3_260:                              ;   in Loop: Header=BB3_223 Depth=1
	s_mov_b32 s24, 0
	s_cbranch_execnz .LBB3_262
.LBB3_261:                              ;   in Loop: Header=BB3_223 Depth=1
	global_load_dwordx2 v[18:19], v31, s[0:1]
	s_add_i32 s24, s25, -8
	s_add_u32 s0, s0, 8
	s_addc_u32 s1, s1, 0
.LBB3_262:                              ;   in Loop: Header=BB3_223 Depth=1
	s_cmp_gt_u32 s24, 7
	s_cbranch_scc1 .LBB3_266
; %bb.263:                              ;   in Loop: Header=BB3_223 Depth=1
	s_cmp_eq_u32 s24, 0
	s_cbranch_scc1 .LBB3_267
; %bb.264:                              ;   in Loop: Header=BB3_223 Depth=1
	s_mov_b64 s[20:21], 0
	v_pk_mov_b32 v[20:21], 0, 0
	s_mov_b64 s[22:23], 0
.LBB3_265:                              ;   Parent Loop BB3_223 Depth=1
                                        ; =>  This Inner Loop Header: Depth=2
	s_add_u32 s26, s0, s22
	s_addc_u32 s27, s1, s23
	global_load_ubyte v4, v31, s[26:27]
	s_add_u32 s22, s22, 1
	s_addc_u32 s23, s23, 0
	s_waitcnt vmcnt(0)
	v_and_b32_e32 v30, 0xffff, v4
	v_lshlrev_b64 v[4:5], s20, v[30:31]
	s_add_u32 s20, s20, 8
	s_addc_u32 s21, s21, 0
	v_or_b32_e32 v20, v4, v20
	s_cmp_lg_u32 s24, s22
	v_or_b32_e32 v21, v5, v21
	s_cbranch_scc1 .LBB3_265
	s_branch .LBB3_268
.LBB3_266:                              ;   in Loop: Header=BB3_223 Depth=1
                                        ; implicit-def: $vgpr20_vgpr21
                                        ; implicit-def: $sgpr25
	s_branch .LBB3_269
.LBB3_267:                              ;   in Loop: Header=BB3_223 Depth=1
	v_pk_mov_b32 v[20:21], 0, 0
.LBB3_268:                              ;   in Loop: Header=BB3_223 Depth=1
	s_mov_b32 s25, 0
	s_cbranch_execnz .LBB3_270
.LBB3_269:                              ;   in Loop: Header=BB3_223 Depth=1
	global_load_dwordx2 v[20:21], v31, s[0:1]
	s_add_i32 s25, s24, -8
	s_add_u32 s0, s0, 8
	s_addc_u32 s1, s1, 0
.LBB3_270:                              ;   in Loop: Header=BB3_223 Depth=1
	s_cmp_gt_u32 s25, 7
	s_cbranch_scc1 .LBB3_274
; %bb.271:                              ;   in Loop: Header=BB3_223 Depth=1
	s_cmp_eq_u32 s25, 0
	s_cbranch_scc1 .LBB3_275
; %bb.272:                              ;   in Loop: Header=BB3_223 Depth=1
	s_mov_b64 s[20:21], 0
	v_pk_mov_b32 v[22:23], 0, 0
	s_mov_b64 s[22:23], s[0:1]
.LBB3_273:                              ;   Parent Loop BB3_223 Depth=1
                                        ; =>  This Inner Loop Header: Depth=2
	global_load_ubyte v4, v31, s[22:23]
	s_add_i32 s25, s25, -1
	s_waitcnt vmcnt(0)
	v_and_b32_e32 v30, 0xffff, v4
	v_lshlrev_b64 v[4:5], s20, v[30:31]
	s_add_u32 s20, s20, 8
	s_addc_u32 s21, s21, 0
	s_add_u32 s22, s22, 1
	s_addc_u32 s23, s23, 0
	v_or_b32_e32 v22, v4, v22
	s_cmp_lg_u32 s25, 0
	v_or_b32_e32 v23, v5, v23
	s_cbranch_scc1 .LBB3_273
	s_branch .LBB3_276
.LBB3_274:                              ;   in Loop: Header=BB3_223 Depth=1
	s_branch .LBB3_277
.LBB3_275:                              ;   in Loop: Header=BB3_223 Depth=1
	v_pk_mov_b32 v[22:23], 0, 0
.LBB3_276:                              ;   in Loop: Header=BB3_223 Depth=1
	s_cbranch_execnz .LBB3_278
.LBB3_277:                              ;   in Loop: Header=BB3_223 Depth=1
	global_load_dwordx2 v[22:23], v31, s[0:1]
.LBB3_278:                              ;   in Loop: Header=BB3_223 Depth=1
	v_readfirstlane_b32 s0, v34
	v_cmp_eq_u32_e64 s[0:1], s0, v34
	s_waitcnt vmcnt(0)
	v_pk_mov_b32 v[4:5], 0, 0
	s_and_saveexec_b64 s[20:21], s[0:1]
	s_cbranch_execz .LBB3_284
; %bb.279:                              ;   in Loop: Header=BB3_223 Depth=1
	global_load_dwordx2 v[26:27], v31, s[14:15] offset:24 glc
	s_waitcnt vmcnt(0)
	buffer_invl2
	buffer_wbinvl1_vol
	global_load_dwordx2 v[4:5], v31, s[14:15] offset:40
	global_load_dwordx2 v[8:9], v31, s[14:15]
	s_waitcnt vmcnt(1)
	v_and_b32_e32 v4, v4, v26
	v_and_b32_e32 v5, v5, v27
	v_mul_lo_u32 v5, v5, 24
	v_mul_hi_u32 v24, v4, 24
	v_mul_lo_u32 v4, v4, 24
	v_add_u32_e32 v5, v24, v5
	s_waitcnt vmcnt(0)
	v_add_co_u32_e32 v4, vcc, v8, v4
	v_addc_co_u32_e32 v5, vcc, v9, v5, vcc
	global_load_dwordx2 v[24:25], v[4:5], off glc
	s_waitcnt vmcnt(0)
	global_atomic_cmpswap_x2 v[4:5], v31, v[24:27], s[14:15] offset:24 glc
	s_waitcnt vmcnt(0)
	buffer_invl2
	buffer_wbinvl1_vol
	v_cmp_ne_u64_e32 vcc, v[4:5], v[26:27]
	s_and_saveexec_b64 s[22:23], vcc
	s_cbranch_execz .LBB3_283
; %bb.280:                              ;   in Loop: Header=BB3_223 Depth=1
	s_mov_b64 s[24:25], 0
.LBB3_281:                              ;   Parent Loop BB3_223 Depth=1
                                        ; =>  This Inner Loop Header: Depth=2
	s_sleep 1
	global_load_dwordx2 v[8:9], v31, s[14:15] offset:40
	global_load_dwordx2 v[24:25], v31, s[14:15]
	v_pk_mov_b32 v[26:27], v[4:5], v[4:5] op_sel:[0,1]
	s_waitcnt vmcnt(1)
	v_and_b32_e32 v4, v8, v26
	s_waitcnt vmcnt(0)
	v_mad_u64_u32 v[4:5], s[26:27], v4, 24, v[24:25]
	v_and_b32_e32 v9, v9, v27
	v_mov_b32_e32 v8, v5
	v_mad_u64_u32 v[8:9], s[26:27], v9, 24, v[8:9]
	v_mov_b32_e32 v5, v8
	global_load_dwordx2 v[24:25], v[4:5], off glc
	s_waitcnt vmcnt(0)
	global_atomic_cmpswap_x2 v[4:5], v31, v[24:27], s[14:15] offset:24 glc
	s_waitcnt vmcnt(0)
	buffer_invl2
	buffer_wbinvl1_vol
	v_cmp_eq_u64_e32 vcc, v[4:5], v[26:27]
	s_or_b64 s[24:25], vcc, s[24:25]
	s_andn2_b64 exec, exec, s[24:25]
	s_cbranch_execnz .LBB3_281
; %bb.282:                              ;   in Loop: Header=BB3_223 Depth=1
	s_or_b64 exec, exec, s[24:25]
.LBB3_283:                              ;   in Loop: Header=BB3_223 Depth=1
	s_or_b64 exec, exec, s[22:23]
.LBB3_284:                              ;   in Loop: Header=BB3_223 Depth=1
	s_or_b64 exec, exec, s[20:21]
	global_load_dwordx2 v[8:9], v31, s[14:15] offset:40
	global_load_dwordx4 v[24:27], v31, s[14:15]
	v_readfirstlane_b32 s20, v4
	v_readfirstlane_b32 s21, v5
	s_mov_b64 s[22:23], exec
	s_waitcnt vmcnt(1)
	v_readfirstlane_b32 s24, v8
	v_readfirstlane_b32 s25, v9
	s_and_b64 s[24:25], s[20:21], s[24:25]
	s_mul_i32 s26, s25, 24
	s_mul_hi_u32 s27, s24, 24
	s_mul_i32 s28, s24, 24
	s_add_i32 s26, s27, s26
	v_mov_b32_e32 v4, s26
	s_waitcnt vmcnt(0)
	v_add_co_u32_e32 v32, vcc, s28, v24
	v_addc_co_u32_e32 v33, vcc, v25, v4, vcc
	s_and_saveexec_b64 s[26:27], s[0:1]
	s_cbranch_execz .LBB3_286
; %bb.285:                              ;   in Loop: Header=BB3_223 Depth=1
	v_pk_mov_b32 v[4:5], s[22:23], s[22:23] op_sel:[0,1]
	global_store_dwordx4 v[32:33], v[4:7], off offset:8
.LBB3_286:                              ;   in Loop: Header=BB3_223 Depth=1
	s_or_b64 exec, exec, s[26:27]
	s_lshl_b64 s[22:23], s[24:25], 12
	v_mov_b32_e32 v4, s23
	v_add_co_u32_e32 v26, vcc, s22, v26
	v_addc_co_u32_e32 v27, vcc, v27, v4, vcc
	v_or_b32_e32 v5, v2, v28
	v_cmp_gt_u64_e64 vcc, s[16:17], 56
	s_lshl_b32 s22, s18, 2
	v_cndmask_b32_e32 v2, v5, v2, vcc
	s_add_i32 s22, s22, 28
	v_or_b32_e32 v4, 0, v3
	s_and_b32 s22, s22, 0x1e0
	v_and_b32_e32 v2, 0xffffff1f, v2
	v_cndmask_b32_e32 v9, v4, v3, vcc
	v_or_b32_e32 v8, s22, v2
	v_readfirstlane_b32 s22, v26
	v_readfirstlane_b32 s23, v27
	s_nop 4
	global_store_dwordx4 v29, v[8:11], s[22:23]
	global_store_dwordx4 v29, v[12:15], s[22:23] offset:16
	global_store_dwordx4 v29, v[16:19], s[22:23] offset:32
	;; [unrolled: 1-line block ×3, first 2 shown]
	s_and_saveexec_b64 s[22:23], s[0:1]
	s_cbranch_execz .LBB3_294
; %bb.287:                              ;   in Loop: Header=BB3_223 Depth=1
	global_load_dwordx2 v[12:13], v31, s[14:15] offset:32 glc
	global_load_dwordx2 v[2:3], v31, s[14:15] offset:40
	v_mov_b32_e32 v10, s20
	v_mov_b32_e32 v11, s21
	s_waitcnt vmcnt(0)
	v_readfirstlane_b32 s24, v2
	v_readfirstlane_b32 s25, v3
	s_and_b64 s[24:25], s[24:25], s[20:21]
	s_mul_i32 s25, s25, 24
	s_mul_hi_u32 s26, s24, 24
	s_mul_i32 s24, s24, 24
	s_add_i32 s25, s26, s25
	v_mov_b32_e32 v2, s25
	v_add_co_u32_e32 v8, vcc, s24, v24
	v_addc_co_u32_e32 v9, vcc, v25, v2, vcc
	global_store_dwordx2 v[8:9], v[12:13], off
	buffer_wbl2
	s_waitcnt vmcnt(0)
	global_atomic_cmpswap_x2 v[4:5], v31, v[10:13], s[14:15] offset:32 glc
	s_waitcnt vmcnt(0)
	v_cmp_ne_u64_e32 vcc, v[4:5], v[12:13]
	s_and_saveexec_b64 s[24:25], vcc
	s_cbranch_execz .LBB3_290
; %bb.288:                              ;   in Loop: Header=BB3_223 Depth=1
	s_mov_b64 s[26:27], 0
.LBB3_289:                              ;   Parent Loop BB3_223 Depth=1
                                        ; =>  This Inner Loop Header: Depth=2
	s_sleep 1
	global_store_dwordx2 v[8:9], v[4:5], off
	v_mov_b32_e32 v2, s20
	v_mov_b32_e32 v3, s21
	buffer_wbl2
	s_waitcnt vmcnt(0)
	global_atomic_cmpswap_x2 v[2:3], v31, v[2:5], s[14:15] offset:32 glc
	s_waitcnt vmcnt(0)
	v_cmp_eq_u64_e32 vcc, v[2:3], v[4:5]
	s_or_b64 s[26:27], vcc, s[26:27]
	v_pk_mov_b32 v[4:5], v[2:3], v[2:3] op_sel:[0,1]
	s_andn2_b64 exec, exec, s[26:27]
	s_cbranch_execnz .LBB3_289
.LBB3_290:                              ;   in Loop: Header=BB3_223 Depth=1
	s_or_b64 exec, exec, s[24:25]
	global_load_dwordx2 v[2:3], v31, s[14:15] offset:16
	s_mov_b64 s[26:27], exec
	v_mbcnt_lo_u32_b32 v4, s26, 0
	v_mbcnt_hi_u32_b32 v4, s27, v4
	v_cmp_eq_u32_e32 vcc, 0, v4
	s_and_saveexec_b64 s[24:25], vcc
	s_cbranch_execz .LBB3_292
; %bb.291:                              ;   in Loop: Header=BB3_223 Depth=1
	s_bcnt1_i32_b64 s26, s[26:27]
	v_mov_b32_e32 v30, s26
	buffer_wbl2
	s_waitcnt vmcnt(0)
	global_atomic_add_x2 v[2:3], v[30:31], off offset:8
.LBB3_292:                              ;   in Loop: Header=BB3_223 Depth=1
	s_or_b64 exec, exec, s[24:25]
	s_waitcnt vmcnt(0)
	global_load_dwordx2 v[4:5], v[2:3], off offset:16
	s_waitcnt vmcnt(0)
	v_cmp_eq_u64_e32 vcc, 0, v[4:5]
	s_cbranch_vccnz .LBB3_294
; %bb.293:                              ;   in Loop: Header=BB3_223 Depth=1
	global_load_dword v30, v[2:3], off offset:24
	s_waitcnt vmcnt(0)
	v_and_b32_e32 v2, 0xffffff, v30
	v_readfirstlane_b32 m0, v2
	buffer_wbl2
	global_store_dwordx2 v[4:5], v[30:31], off
	s_sendmsg sendmsg(MSG_INTERRUPT)
.LBB3_294:                              ;   in Loop: Header=BB3_223 Depth=1
	s_or_b64 exec, exec, s[22:23]
	v_add_co_u32_e32 v2, vcc, v26, v29
	v_addc_co_u32_e32 v3, vcc, 0, v27, vcc
	s_branch .LBB3_298
.LBB3_295:                              ;   in Loop: Header=BB3_298 Depth=2
	s_or_b64 exec, exec, s[22:23]
	v_readfirstlane_b32 s22, v4
	s_cmp_eq_u32 s22, 0
	s_cbranch_scc1 .LBB3_297
; %bb.296:                              ;   in Loop: Header=BB3_298 Depth=2
	s_sleep 1
	s_cbranch_execnz .LBB3_298
	s_branch .LBB3_300
.LBB3_297:                              ;   in Loop: Header=BB3_223 Depth=1
	s_branch .LBB3_300
.LBB3_298:                              ;   Parent Loop BB3_223 Depth=1
                                        ; =>  This Inner Loop Header: Depth=2
	v_mov_b32_e32 v4, 1
	s_and_saveexec_b64 s[22:23], s[0:1]
	s_cbranch_execz .LBB3_295
; %bb.299:                              ;   in Loop: Header=BB3_298 Depth=2
	global_load_dword v4, v[32:33], off offset:20 glc
	s_waitcnt vmcnt(0)
	buffer_invl2
	buffer_wbinvl1_vol
	v_and_b32_e32 v4, 1, v4
	s_branch .LBB3_295
.LBB3_300:                              ;   in Loop: Header=BB3_223 Depth=1
	global_load_dwordx4 v[2:5], v[2:3], off
	s_and_saveexec_b64 s[22:23], s[0:1]
	s_cbranch_execz .LBB3_222
; %bb.301:                              ;   in Loop: Header=BB3_223 Depth=1
	global_load_dwordx2 v[4:5], v31, s[14:15] offset:40
	global_load_dwordx2 v[12:13], v31, s[14:15] offset:24 glc
	global_load_dwordx2 v[14:15], v31, s[14:15]
	v_mov_b32_e32 v9, s21
	s_waitcnt vmcnt(2)
	v_add_co_u32_e32 v11, vcc, 1, v4
	v_addc_co_u32_e32 v16, vcc, 0, v5, vcc
	v_add_co_u32_e32 v8, vcc, s20, v11
	v_addc_co_u32_e32 v9, vcc, v16, v9, vcc
	v_cmp_eq_u64_e32 vcc, 0, v[8:9]
	v_cndmask_b32_e32 v9, v9, v16, vcc
	v_cndmask_b32_e32 v8, v8, v11, vcc
	v_and_b32_e32 v5, v9, v5
	v_and_b32_e32 v4, v8, v4
	v_mul_lo_u32 v5, v5, 24
	v_mul_hi_u32 v11, v4, 24
	v_mul_lo_u32 v4, v4, 24
	v_add_u32_e32 v5, v11, v5
	s_waitcnt vmcnt(0)
	v_add_co_u32_e32 v4, vcc, v14, v4
	v_addc_co_u32_e32 v5, vcc, v15, v5, vcc
	v_mov_b32_e32 v10, v12
	global_store_dwordx2 v[4:5], v[12:13], off
	v_mov_b32_e32 v11, v13
	buffer_wbl2
	s_waitcnt vmcnt(0)
	global_atomic_cmpswap_x2 v[10:11], v31, v[8:11], s[14:15] offset:24 glc
	s_waitcnt vmcnt(0)
	v_cmp_ne_u64_e32 vcc, v[10:11], v[12:13]
	s_and_b64 exec, exec, vcc
	s_cbranch_execz .LBB3_222
; %bb.302:                              ;   in Loop: Header=BB3_223 Depth=1
	s_mov_b64 s[0:1], 0
.LBB3_303:                              ;   Parent Loop BB3_223 Depth=1
                                        ; =>  This Inner Loop Header: Depth=2
	s_sleep 1
	global_store_dwordx2 v[4:5], v[10:11], off
	buffer_wbl2
	s_waitcnt vmcnt(0)
	global_atomic_cmpswap_x2 v[12:13], v31, v[8:11], s[14:15] offset:24 glc
	s_waitcnt vmcnt(0)
	v_cmp_eq_u64_e32 vcc, v[12:13], v[10:11]
	s_or_b64 s[0:1], vcc, s[0:1]
	v_pk_mov_b32 v[10:11], v[12:13], v[12:13] op_sel:[0,1]
	s_andn2_b64 exec, exec, s[0:1]
	s_cbranch_execnz .LBB3_303
	s_branch .LBB3_222
.LBB3_304:
	s_branch .LBB3_332
.LBB3_305:
                                        ; implicit-def: $vgpr2_vgpr3
	s_cbranch_execz .LBB3_332
; %bb.306:
	v_readfirstlane_b32 s0, v34
	v_cmp_eq_u32_e64 s[0:1], s0, v34
	v_pk_mov_b32 v[8:9], 0, 0
	s_and_saveexec_b64 s[2:3], s[0:1]
	s_cbranch_execz .LBB3_312
; %bb.307:
	s_waitcnt vmcnt(0)
	v_mov_b32_e32 v2, 0
	global_load_dwordx2 v[6:7], v2, s[14:15] offset:24 glc
	s_waitcnt vmcnt(0)
	buffer_invl2
	buffer_wbinvl1_vol
	global_load_dwordx2 v[4:5], v2, s[14:15] offset:40
	global_load_dwordx2 v[8:9], v2, s[14:15]
	s_waitcnt vmcnt(1)
	v_and_b32_e32 v3, v4, v6
	v_and_b32_e32 v4, v5, v7
	v_mul_lo_u32 v4, v4, 24
	v_mul_hi_u32 v5, v3, 24
	v_mul_lo_u32 v3, v3, 24
	v_add_u32_e32 v5, v5, v4
	s_waitcnt vmcnt(0)
	v_add_co_u32_e32 v4, vcc, v8, v3
	v_addc_co_u32_e32 v5, vcc, v9, v5, vcc
	global_load_dwordx2 v[4:5], v[4:5], off glc
	s_waitcnt vmcnt(0)
	global_atomic_cmpswap_x2 v[8:9], v2, v[4:7], s[14:15] offset:24 glc
	s_waitcnt vmcnt(0)
	buffer_invl2
	buffer_wbinvl1_vol
	v_cmp_ne_u64_e32 vcc, v[8:9], v[6:7]
	s_and_saveexec_b64 s[16:17], vcc
	s_cbranch_execz .LBB3_311
; %bb.308:
	s_mov_b64 s[18:19], 0
.LBB3_309:                              ; =>This Inner Loop Header: Depth=1
	s_sleep 1
	global_load_dwordx2 v[4:5], v2, s[14:15] offset:40
	global_load_dwordx2 v[10:11], v2, s[14:15]
	v_pk_mov_b32 v[6:7], v[8:9], v[8:9] op_sel:[0,1]
	s_waitcnt vmcnt(1)
	v_and_b32_e32 v4, v4, v6
	v_and_b32_e32 v3, v5, v7
	s_waitcnt vmcnt(0)
	v_mad_u64_u32 v[4:5], s[20:21], v4, 24, v[10:11]
	v_mov_b32_e32 v8, v5
	v_mad_u64_u32 v[8:9], s[20:21], v3, 24, v[8:9]
	v_mov_b32_e32 v5, v8
	global_load_dwordx2 v[4:5], v[4:5], off glc
	s_waitcnt vmcnt(0)
	global_atomic_cmpswap_x2 v[8:9], v2, v[4:7], s[14:15] offset:24 glc
	s_waitcnt vmcnt(0)
	buffer_invl2
	buffer_wbinvl1_vol
	v_cmp_eq_u64_e32 vcc, v[8:9], v[6:7]
	s_or_b64 s[18:19], vcc, s[18:19]
	s_andn2_b64 exec, exec, s[18:19]
	s_cbranch_execnz .LBB3_309
; %bb.310:
	s_or_b64 exec, exec, s[18:19]
.LBB3_311:
	s_or_b64 exec, exec, s[16:17]
.LBB3_312:
	s_or_b64 exec, exec, s[2:3]
	s_waitcnt vmcnt(0)
	v_mov_b32_e32 v2, 0
	global_load_dwordx2 v[10:11], v2, s[14:15] offset:40
	global_load_dwordx4 v[4:7], v2, s[14:15]
	v_readfirstlane_b32 s2, v8
	v_readfirstlane_b32 s3, v9
	s_mov_b64 s[16:17], exec
	s_waitcnt vmcnt(1)
	v_readfirstlane_b32 s18, v10
	v_readfirstlane_b32 s19, v11
	s_and_b64 s[18:19], s[2:3], s[18:19]
	s_mul_i32 s20, s19, 24
	s_mul_hi_u32 s21, s18, 24
	s_mul_i32 s22, s18, 24
	s_add_i32 s20, s21, s20
	v_mov_b32_e32 v3, s20
	s_waitcnt vmcnt(0)
	v_add_co_u32_e32 v8, vcc, s22, v4
	v_addc_co_u32_e32 v9, vcc, v5, v3, vcc
	s_and_saveexec_b64 s[20:21], s[0:1]
	s_cbranch_execz .LBB3_314
; %bb.313:
	v_pk_mov_b32 v[10:11], s[16:17], s[16:17] op_sel:[0,1]
	v_mov_b32_e32 v12, 2
	v_mov_b32_e32 v13, 1
	global_store_dwordx4 v[8:9], v[10:13], off offset:8
.LBB3_314:
	s_or_b64 exec, exec, s[20:21]
	s_lshl_b64 s[16:17], s[18:19], 12
	v_mov_b32_e32 v3, s17
	v_add_co_u32_e32 v10, vcc, s16, v6
	s_movk_i32 s16, 0xff1f
	v_addc_co_u32_e32 v11, vcc, v7, v3, vcc
	v_and_or_b32 v0, v0, s16, 32
	s_mov_b32 s16, 0
	v_mov_b32_e32 v3, v2
	v_readfirstlane_b32 s20, v10
	v_readfirstlane_b32 s21, v11
	s_mov_b32 s17, s16
	v_add_co_u32_e32 v6, vcc, v10, v29
	s_mov_b32 s18, s16
	s_mov_b32 s19, s16
	s_nop 0
	global_store_dwordx4 v29, v[0:3], s[20:21]
	v_addc_co_u32_e32 v7, vcc, 0, v11, vcc
	v_pk_mov_b32 v[0:1], s[16:17], s[16:17] op_sel:[0,1]
	v_pk_mov_b32 v[2:3], s[18:19], s[18:19] op_sel:[0,1]
	global_store_dwordx4 v29, v[0:3], s[20:21] offset:16
	global_store_dwordx4 v29, v[0:3], s[20:21] offset:32
	;; [unrolled: 1-line block ×3, first 2 shown]
	s_and_saveexec_b64 s[16:17], s[0:1]
	s_cbranch_execz .LBB3_322
; %bb.315:
	v_mov_b32_e32 v10, 0
	global_load_dwordx2 v[14:15], v10, s[14:15] offset:32 glc
	global_load_dwordx2 v[0:1], v10, s[14:15] offset:40
	v_mov_b32_e32 v12, s2
	v_mov_b32_e32 v13, s3
	s_waitcnt vmcnt(0)
	v_readfirstlane_b32 s18, v0
	v_readfirstlane_b32 s19, v1
	s_and_b64 s[18:19], s[18:19], s[2:3]
	s_mul_i32 s19, s19, 24
	s_mul_hi_u32 s20, s18, 24
	s_mul_i32 s18, s18, 24
	s_add_i32 s19, s20, s19
	v_mov_b32_e32 v0, s19
	v_add_co_u32_e32 v4, vcc, s18, v4
	v_addc_co_u32_e32 v5, vcc, v5, v0, vcc
	global_store_dwordx2 v[4:5], v[14:15], off
	buffer_wbl2
	s_waitcnt vmcnt(0)
	global_atomic_cmpswap_x2 v[2:3], v10, v[12:15], s[14:15] offset:32 glc
	s_waitcnt vmcnt(0)
	v_cmp_ne_u64_e32 vcc, v[2:3], v[14:15]
	s_and_saveexec_b64 s[18:19], vcc
	s_cbranch_execz .LBB3_318
; %bb.316:
	s_mov_b64 s[20:21], 0
.LBB3_317:                              ; =>This Inner Loop Header: Depth=1
	s_sleep 1
	global_store_dwordx2 v[4:5], v[2:3], off
	v_mov_b32_e32 v0, s2
	v_mov_b32_e32 v1, s3
	buffer_wbl2
	s_waitcnt vmcnt(0)
	global_atomic_cmpswap_x2 v[0:1], v10, v[0:3], s[14:15] offset:32 glc
	s_waitcnt vmcnt(0)
	v_cmp_eq_u64_e32 vcc, v[0:1], v[2:3]
	s_or_b64 s[20:21], vcc, s[20:21]
	v_pk_mov_b32 v[2:3], v[0:1], v[0:1] op_sel:[0,1]
	s_andn2_b64 exec, exec, s[20:21]
	s_cbranch_execnz .LBB3_317
.LBB3_318:
	s_or_b64 exec, exec, s[18:19]
	v_mov_b32_e32 v3, 0
	global_load_dwordx2 v[0:1], v3, s[14:15] offset:16
	s_mov_b64 s[18:19], exec
	v_mbcnt_lo_u32_b32 v2, s18, 0
	v_mbcnt_hi_u32_b32 v2, s19, v2
	v_cmp_eq_u32_e32 vcc, 0, v2
	s_and_saveexec_b64 s[20:21], vcc
	s_cbranch_execz .LBB3_320
; %bb.319:
	s_bcnt1_i32_b64 s18, s[18:19]
	v_mov_b32_e32 v2, s18
	buffer_wbl2
	s_waitcnt vmcnt(0)
	global_atomic_add_x2 v[0:1], v[2:3], off offset:8
.LBB3_320:
	s_or_b64 exec, exec, s[20:21]
	s_waitcnt vmcnt(0)
	global_load_dwordx2 v[2:3], v[0:1], off offset:16
	s_waitcnt vmcnt(0)
	v_cmp_eq_u64_e32 vcc, 0, v[2:3]
	s_cbranch_vccnz .LBB3_322
; %bb.321:
	global_load_dword v0, v[0:1], off offset:24
	v_mov_b32_e32 v1, 0
	buffer_wbl2
	s_waitcnt vmcnt(0)
	global_store_dwordx2 v[2:3], v[0:1], off
	v_and_b32_e32 v0, 0xffffff, v0
	v_readfirstlane_b32 m0, v0
	s_sendmsg sendmsg(MSG_INTERRUPT)
.LBB3_322:
	s_or_b64 exec, exec, s[16:17]
	s_branch .LBB3_326
.LBB3_323:                              ;   in Loop: Header=BB3_326 Depth=1
	s_or_b64 exec, exec, s[16:17]
	v_readfirstlane_b32 s16, v0
	s_cmp_eq_u32 s16, 0
	s_cbranch_scc1 .LBB3_325
; %bb.324:                              ;   in Loop: Header=BB3_326 Depth=1
	s_sleep 1
	s_cbranch_execnz .LBB3_326
	s_branch .LBB3_328
.LBB3_325:
	s_branch .LBB3_328
.LBB3_326:                              ; =>This Inner Loop Header: Depth=1
	v_mov_b32_e32 v0, 1
	s_and_saveexec_b64 s[16:17], s[0:1]
	s_cbranch_execz .LBB3_323
; %bb.327:                              ;   in Loop: Header=BB3_326 Depth=1
	global_load_dword v0, v[8:9], off offset:20 glc
	s_waitcnt vmcnt(0)
	buffer_invl2
	buffer_wbinvl1_vol
	v_and_b32_e32 v0, 1, v0
	s_branch .LBB3_323
.LBB3_328:
	global_load_dwordx2 v[2:3], v[6:7], off
	s_and_saveexec_b64 s[16:17], s[0:1]
	s_cbranch_execz .LBB3_331
; %bb.329:
	v_mov_b32_e32 v8, 0
	global_load_dwordx2 v[0:1], v8, s[14:15] offset:40
	global_load_dwordx2 v[10:11], v8, s[14:15] offset:24 glc
	global_load_dwordx2 v[12:13], v8, s[14:15]
	v_mov_b32_e32 v5, s3
	s_mov_b64 s[0:1], 0
	s_waitcnt vmcnt(2)
	v_add_co_u32_e32 v7, vcc, 1, v0
	v_addc_co_u32_e32 v9, vcc, 0, v1, vcc
	v_add_co_u32_e32 v4, vcc, s2, v7
	v_addc_co_u32_e32 v5, vcc, v9, v5, vcc
	v_cmp_eq_u64_e32 vcc, 0, v[4:5]
	v_cndmask_b32_e32 v5, v5, v9, vcc
	v_cndmask_b32_e32 v4, v4, v7, vcc
	v_and_b32_e32 v1, v5, v1
	v_and_b32_e32 v0, v4, v0
	v_mul_lo_u32 v1, v1, 24
	v_mul_hi_u32 v7, v0, 24
	v_mul_lo_u32 v0, v0, 24
	v_add_u32_e32 v1, v7, v1
	s_waitcnt vmcnt(0)
	v_add_co_u32_e32 v0, vcc, v12, v0
	v_addc_co_u32_e32 v1, vcc, v13, v1, vcc
	v_mov_b32_e32 v6, v10
	global_store_dwordx2 v[0:1], v[10:11], off
	v_mov_b32_e32 v7, v11
	buffer_wbl2
	s_waitcnt vmcnt(0)
	global_atomic_cmpswap_x2 v[6:7], v8, v[4:7], s[14:15] offset:24 glc
	s_waitcnt vmcnt(0)
	v_cmp_ne_u64_e32 vcc, v[6:7], v[10:11]
	s_and_b64 exec, exec, vcc
	s_cbranch_execz .LBB3_331
.LBB3_330:                              ; =>This Inner Loop Header: Depth=1
	s_sleep 1
	global_store_dwordx2 v[0:1], v[6:7], off
	buffer_wbl2
	s_waitcnt vmcnt(0)
	global_atomic_cmpswap_x2 v[10:11], v8, v[4:7], s[14:15] offset:24 glc
	s_waitcnt vmcnt(0)
	v_cmp_eq_u64_e32 vcc, v[10:11], v[6:7]
	s_or_b64 s[0:1], vcc, s[0:1]
	v_pk_mov_b32 v[6:7], v[10:11], v[10:11] op_sel:[0,1]
	s_andn2_b64 exec, exec, s[0:1]
	s_cbranch_execnz .LBB3_330
.LBB3_331:
	s_or_b64 exec, exec, s[16:17]
.LBB3_332:
	v_readfirstlane_b32 s0, v34
	v_cmp_eq_u32_e64 s[0:1], s0, v34
	s_waitcnt vmcnt(0)
	v_pk_mov_b32 v[0:1], 0, 0
	s_and_saveexec_b64 s[2:3], s[0:1]
	s_cbranch_execz .LBB3_338
; %bb.333:
	v_mov_b32_e32 v4, 0
	global_load_dwordx2 v[8:9], v4, s[14:15] offset:24 glc
	s_waitcnt vmcnt(0)
	buffer_invl2
	buffer_wbinvl1_vol
	global_load_dwordx2 v[0:1], v4, s[14:15] offset:40
	global_load_dwordx2 v[6:7], v4, s[14:15]
	s_waitcnt vmcnt(1)
	v_and_b32_e32 v0, v0, v8
	v_and_b32_e32 v1, v1, v9
	v_mul_lo_u32 v1, v1, 24
	v_mul_hi_u32 v5, v0, 24
	v_mul_lo_u32 v0, v0, 24
	v_add_u32_e32 v1, v5, v1
	s_waitcnt vmcnt(0)
	v_add_co_u32_e32 v0, vcc, v6, v0
	v_addc_co_u32_e32 v1, vcc, v7, v1, vcc
	global_load_dwordx2 v[6:7], v[0:1], off glc
	s_waitcnt vmcnt(0)
	global_atomic_cmpswap_x2 v[0:1], v4, v[6:9], s[14:15] offset:24 glc
	s_waitcnt vmcnt(0)
	buffer_invl2
	buffer_wbinvl1_vol
	v_cmp_ne_u64_e32 vcc, v[0:1], v[8:9]
	s_and_saveexec_b64 s[16:17], vcc
	s_cbranch_execz .LBB3_337
; %bb.334:
	s_mov_b64 s[18:19], 0
.LBB3_335:                              ; =>This Inner Loop Header: Depth=1
	s_sleep 1
	global_load_dwordx2 v[6:7], v4, s[14:15] offset:40
	global_load_dwordx2 v[10:11], v4, s[14:15]
	v_pk_mov_b32 v[8:9], v[0:1], v[0:1] op_sel:[0,1]
	s_waitcnt vmcnt(1)
	v_and_b32_e32 v0, v6, v8
	s_waitcnt vmcnt(0)
	v_mad_u64_u32 v[0:1], s[20:21], v0, 24, v[10:11]
	v_and_b32_e32 v5, v7, v9
	v_mov_b32_e32 v6, v1
	v_mad_u64_u32 v[6:7], s[20:21], v5, 24, v[6:7]
	v_mov_b32_e32 v1, v6
	global_load_dwordx2 v[6:7], v[0:1], off glc
	s_waitcnt vmcnt(0)
	global_atomic_cmpswap_x2 v[0:1], v4, v[6:9], s[14:15] offset:24 glc
	s_waitcnt vmcnt(0)
	buffer_invl2
	buffer_wbinvl1_vol
	v_cmp_eq_u64_e32 vcc, v[0:1], v[8:9]
	s_or_b64 s[18:19], vcc, s[18:19]
	s_andn2_b64 exec, exec, s[18:19]
	s_cbranch_execnz .LBB3_335
; %bb.336:
	s_or_b64 exec, exec, s[18:19]
.LBB3_337:
	s_or_b64 exec, exec, s[16:17]
.LBB3_338:
	s_or_b64 exec, exec, s[2:3]
	v_mov_b32_e32 v5, 0
	global_load_dwordx2 v[10:11], v5, s[14:15] offset:40
	global_load_dwordx4 v[6:9], v5, s[14:15]
	v_readfirstlane_b32 s2, v0
	v_readfirstlane_b32 s3, v1
	s_mov_b64 s[16:17], exec
	s_waitcnt vmcnt(1)
	v_readfirstlane_b32 s18, v10
	v_readfirstlane_b32 s19, v11
	s_and_b64 s[18:19], s[2:3], s[18:19]
	s_mul_i32 s20, s19, 24
	s_mul_hi_u32 s21, s18, 24
	s_mul_i32 s22, s18, 24
	s_add_i32 s20, s21, s20
	v_mov_b32_e32 v0, s20
	s_waitcnt vmcnt(0)
	v_add_co_u32_e32 v10, vcc, s22, v6
	v_addc_co_u32_e32 v11, vcc, v7, v0, vcc
	s_and_saveexec_b64 s[20:21], s[0:1]
	s_cbranch_execz .LBB3_340
; %bb.339:
	v_pk_mov_b32 v[12:13], s[16:17], s[16:17] op_sel:[0,1]
	v_mov_b32_e32 v14, 2
	v_mov_b32_e32 v15, 1
	global_store_dwordx4 v[10:11], v[12:15], off offset:8
.LBB3_340:
	s_or_b64 exec, exec, s[20:21]
	s_lshl_b64 s[16:17], s[18:19], 12
	v_add_co_u32_e32 v0, vcc, s16, v8
	s_mul_i32 s16, s11, s30
	s_sub_i32 s16, s10, s16
	v_mov_b32_e32 v1, s17
	s_add_i32 s17, s11, 1
	s_sub_i32 s18, s16, s30
	s_cmp_ge_u32 s16, s30
	s_cselect_b32 s11, s17, s11
	s_cselect_b32 s16, s18, s16
	s_add_i32 s17, s11, 1
	s_cmp_ge_u32 s16, s30
	v_addc_co_u32_e32 v1, vcc, v9, v1, vcc
	s_cselect_b32 s11, s17, s11
	s_mov_b32 s16, 0
	s_movk_i32 s17, 0xff1f
	v_and_or_b32 v2, v2, s17, 32
	v_add_co_u32_e32 v8, vcc, v0, v29
	v_mov_b32_e32 v4, s11
	v_readfirstlane_b32 s20, v0
	v_readfirstlane_b32 s21, v1
	s_mov_b32 s17, s16
	v_addc_co_u32_e32 v9, vcc, 0, v1, vcc
	s_mov_b32 s18, s16
	s_mov_b32 s19, s16
	s_nop 0
	global_store_dwordx4 v29, v[2:5], s[20:21]
	v_pk_mov_b32 v[0:1], s[16:17], s[16:17] op_sel:[0,1]
	v_pk_mov_b32 v[2:3], s[18:19], s[18:19] op_sel:[0,1]
	global_store_dwordx4 v29, v[0:3], s[20:21] offset:16
	global_store_dwordx4 v29, v[0:3], s[20:21] offset:32
	;; [unrolled: 1-line block ×3, first 2 shown]
	s_and_saveexec_b64 s[16:17], s[0:1]
	s_cbranch_execz .LBB3_348
; %bb.341:
	v_mov_b32_e32 v12, 0
	global_load_dwordx2 v[16:17], v12, s[14:15] offset:32 glc
	global_load_dwordx2 v[0:1], v12, s[14:15] offset:40
	v_mov_b32_e32 v14, s2
	v_mov_b32_e32 v15, s3
	s_waitcnt vmcnt(0)
	v_readfirstlane_b32 s18, v0
	v_readfirstlane_b32 s19, v1
	s_and_b64 s[18:19], s[18:19], s[2:3]
	s_mul_i32 s11, s19, 24
	s_mul_hi_u32 s19, s18, 24
	s_mul_i32 s18, s18, 24
	s_add_i32 s11, s19, s11
	v_mov_b32_e32 v0, s11
	v_add_co_u32_e32 v4, vcc, s18, v6
	v_addc_co_u32_e32 v5, vcc, v7, v0, vcc
	global_store_dwordx2 v[4:5], v[16:17], off
	buffer_wbl2
	s_waitcnt vmcnt(0)
	global_atomic_cmpswap_x2 v[2:3], v12, v[14:17], s[14:15] offset:32 glc
	s_waitcnt vmcnt(0)
	v_cmp_ne_u64_e32 vcc, v[2:3], v[16:17]
	s_and_saveexec_b64 s[18:19], vcc
	s_cbranch_execz .LBB3_344
; %bb.342:
	s_mov_b64 s[20:21], 0
.LBB3_343:                              ; =>This Inner Loop Header: Depth=1
	s_sleep 1
	global_store_dwordx2 v[4:5], v[2:3], off
	v_mov_b32_e32 v0, s2
	v_mov_b32_e32 v1, s3
	buffer_wbl2
	s_waitcnt vmcnt(0)
	global_atomic_cmpswap_x2 v[0:1], v12, v[0:3], s[14:15] offset:32 glc
	s_waitcnt vmcnt(0)
	v_cmp_eq_u64_e32 vcc, v[0:1], v[2:3]
	s_or_b64 s[20:21], vcc, s[20:21]
	v_pk_mov_b32 v[2:3], v[0:1], v[0:1] op_sel:[0,1]
	s_andn2_b64 exec, exec, s[20:21]
	s_cbranch_execnz .LBB3_343
.LBB3_344:
	s_or_b64 exec, exec, s[18:19]
	v_mov_b32_e32 v3, 0
	global_load_dwordx2 v[0:1], v3, s[14:15] offset:16
	s_mov_b64 s[18:19], exec
	v_mbcnt_lo_u32_b32 v2, s18, 0
	v_mbcnt_hi_u32_b32 v2, s19, v2
	v_cmp_eq_u32_e32 vcc, 0, v2
	s_and_saveexec_b64 s[20:21], vcc
	s_cbranch_execz .LBB3_346
; %bb.345:
	s_bcnt1_i32_b64 s11, s[18:19]
	v_mov_b32_e32 v2, s11
	buffer_wbl2
	s_waitcnt vmcnt(0)
	global_atomic_add_x2 v[0:1], v[2:3], off offset:8
.LBB3_346:
	s_or_b64 exec, exec, s[20:21]
	s_waitcnt vmcnt(0)
	global_load_dwordx2 v[2:3], v[0:1], off offset:16
	s_waitcnt vmcnt(0)
	v_cmp_eq_u64_e32 vcc, 0, v[2:3]
	s_cbranch_vccnz .LBB3_348
; %bb.347:
	global_load_dword v0, v[0:1], off offset:24
	v_mov_b32_e32 v1, 0
	buffer_wbl2
	s_waitcnt vmcnt(0)
	global_store_dwordx2 v[2:3], v[0:1], off
	v_and_b32_e32 v0, 0xffffff, v0
	v_readfirstlane_b32 m0, v0
	s_sendmsg sendmsg(MSG_INTERRUPT)
.LBB3_348:
	s_or_b64 exec, exec, s[16:17]
	s_branch .LBB3_352
.LBB3_349:                              ;   in Loop: Header=BB3_352 Depth=1
	s_or_b64 exec, exec, s[16:17]
	v_readfirstlane_b32 s11, v0
	s_cmp_eq_u32 s11, 0
	s_cbranch_scc1 .LBB3_351
; %bb.350:                              ;   in Loop: Header=BB3_352 Depth=1
	s_sleep 1
	s_cbranch_execnz .LBB3_352
	s_branch .LBB3_354
.LBB3_351:
	s_branch .LBB3_354
.LBB3_352:                              ; =>This Inner Loop Header: Depth=1
	v_mov_b32_e32 v0, 1
	s_and_saveexec_b64 s[16:17], s[0:1]
	s_cbranch_execz .LBB3_349
; %bb.353:                              ;   in Loop: Header=BB3_352 Depth=1
	global_load_dword v0, v[10:11], off offset:20 glc
	s_waitcnt vmcnt(0)
	buffer_invl2
	buffer_wbinvl1_vol
	v_and_b32_e32 v0, 1, v0
	s_branch .LBB3_349
.LBB3_354:
	global_load_dwordx2 v[0:1], v[8:9], off
	s_and_saveexec_b64 s[16:17], s[0:1]
	s_cbranch_execz .LBB3_357
; %bb.355:
	v_mov_b32_e32 v8, 0
	global_load_dwordx2 v[6:7], v8, s[14:15] offset:40
	global_load_dwordx2 v[10:11], v8, s[14:15] offset:24 glc
	global_load_dwordx2 v[12:13], v8, s[14:15]
	v_mov_b32_e32 v3, s3
	s_mov_b64 s[0:1], 0
	s_waitcnt vmcnt(2)
	v_add_co_u32_e32 v5, vcc, 1, v6
	v_addc_co_u32_e32 v9, vcc, 0, v7, vcc
	v_add_co_u32_e32 v2, vcc, s2, v5
	v_addc_co_u32_e32 v3, vcc, v9, v3, vcc
	v_cmp_eq_u64_e32 vcc, 0, v[2:3]
	v_cndmask_b32_e32 v3, v3, v9, vcc
	v_cndmask_b32_e32 v2, v2, v5, vcc
	v_and_b32_e32 v5, v3, v7
	v_and_b32_e32 v6, v2, v6
	v_mul_lo_u32 v5, v5, 24
	v_mul_hi_u32 v7, v6, 24
	v_mul_lo_u32 v6, v6, 24
	v_add_u32_e32 v5, v7, v5
	s_waitcnt vmcnt(0)
	v_add_co_u32_e32 v6, vcc, v12, v6
	v_addc_co_u32_e32 v7, vcc, v13, v5, vcc
	v_mov_b32_e32 v4, v10
	global_store_dwordx2 v[6:7], v[10:11], off
	v_mov_b32_e32 v5, v11
	buffer_wbl2
	s_waitcnt vmcnt(0)
	global_atomic_cmpswap_x2 v[4:5], v8, v[2:5], s[14:15] offset:24 glc
	s_waitcnt vmcnt(0)
	v_cmp_ne_u64_e32 vcc, v[4:5], v[10:11]
	s_and_b64 exec, exec, vcc
	s_cbranch_execz .LBB3_357
.LBB3_356:                              ; =>This Inner Loop Header: Depth=1
	s_sleep 1
	global_store_dwordx2 v[6:7], v[4:5], off
	buffer_wbl2
	s_waitcnt vmcnt(0)
	global_atomic_cmpswap_x2 v[10:11], v8, v[2:5], s[14:15] offset:24 glc
	s_waitcnt vmcnt(0)
	v_cmp_eq_u64_e32 vcc, v[10:11], v[4:5]
	s_or_b64 s[0:1], vcc, s[0:1]
	v_pk_mov_b32 v[4:5], v[10:11], v[10:11] op_sel:[0,1]
	s_andn2_b64 exec, exec, s[0:1]
	s_cbranch_execnz .LBB3_356
.LBB3_357:
	s_or_b64 exec, exec, s[16:17]
	v_readfirstlane_b32 s0, v34
	v_cmp_eq_u32_e64 s[0:1], s0, v34
	v_pk_mov_b32 v[8:9], 0, 0
	s_and_saveexec_b64 s[2:3], s[0:1]
	s_cbranch_execz .LBB3_363
; %bb.358:
	v_mov_b32_e32 v2, 0
	global_load_dwordx2 v[6:7], v2, s[14:15] offset:24 glc
	s_waitcnt vmcnt(0)
	buffer_invl2
	buffer_wbinvl1_vol
	global_load_dwordx2 v[4:5], v2, s[14:15] offset:40
	global_load_dwordx2 v[8:9], v2, s[14:15]
	s_waitcnt vmcnt(1)
	v_and_b32_e32 v3, v4, v6
	v_and_b32_e32 v4, v5, v7
	v_mul_lo_u32 v4, v4, 24
	v_mul_hi_u32 v5, v3, 24
	v_mul_lo_u32 v3, v3, 24
	v_add_u32_e32 v5, v5, v4
	s_waitcnt vmcnt(0)
	v_add_co_u32_e32 v4, vcc, v8, v3
	v_addc_co_u32_e32 v5, vcc, v9, v5, vcc
	global_load_dwordx2 v[4:5], v[4:5], off glc
	s_waitcnt vmcnt(0)
	global_atomic_cmpswap_x2 v[8:9], v2, v[4:7], s[14:15] offset:24 glc
	s_waitcnt vmcnt(0)
	buffer_invl2
	buffer_wbinvl1_vol
	v_cmp_ne_u64_e32 vcc, v[8:9], v[6:7]
	s_and_saveexec_b64 s[16:17], vcc
	s_cbranch_execz .LBB3_362
; %bb.359:
	s_mov_b64 s[18:19], 0
.LBB3_360:                              ; =>This Inner Loop Header: Depth=1
	s_sleep 1
	global_load_dwordx2 v[4:5], v2, s[14:15] offset:40
	global_load_dwordx2 v[10:11], v2, s[14:15]
	v_pk_mov_b32 v[6:7], v[8:9], v[8:9] op_sel:[0,1]
	s_waitcnt vmcnt(1)
	v_and_b32_e32 v4, v4, v6
	v_and_b32_e32 v3, v5, v7
	s_waitcnt vmcnt(0)
	v_mad_u64_u32 v[4:5], s[20:21], v4, 24, v[10:11]
	v_mov_b32_e32 v8, v5
	v_mad_u64_u32 v[8:9], s[20:21], v3, 24, v[8:9]
	v_mov_b32_e32 v5, v8
	global_load_dwordx2 v[4:5], v[4:5], off glc
	s_waitcnt vmcnt(0)
	global_atomic_cmpswap_x2 v[8:9], v2, v[4:7], s[14:15] offset:24 glc
	s_waitcnt vmcnt(0)
	buffer_invl2
	buffer_wbinvl1_vol
	v_cmp_eq_u64_e32 vcc, v[8:9], v[6:7]
	s_or_b64 s[18:19], vcc, s[18:19]
	s_andn2_b64 exec, exec, s[18:19]
	s_cbranch_execnz .LBB3_360
; %bb.361:
	s_or_b64 exec, exec, s[18:19]
.LBB3_362:
	s_or_b64 exec, exec, s[16:17]
.LBB3_363:
	s_or_b64 exec, exec, s[2:3]
	v_mov_b32_e32 v3, 0
	global_load_dwordx2 v[10:11], v3, s[14:15] offset:40
	global_load_dwordx4 v[4:7], v3, s[14:15]
	v_readfirstlane_b32 s2, v8
	v_readfirstlane_b32 s3, v9
	s_mov_b64 s[16:17], exec
	s_waitcnt vmcnt(1)
	v_readfirstlane_b32 s18, v10
	v_readfirstlane_b32 s19, v11
	s_and_b64 s[18:19], s[2:3], s[18:19]
	s_mul_i32 s11, s19, 24
	s_mul_hi_u32 s20, s18, 24
	s_mul_i32 s21, s18, 24
	s_add_i32 s11, s20, s11
	v_mov_b32_e32 v2, s11
	s_waitcnt vmcnt(0)
	v_add_co_u32_e32 v8, vcc, s21, v4
	v_addc_co_u32_e32 v9, vcc, v5, v2, vcc
	s_and_saveexec_b64 s[20:21], s[0:1]
	s_cbranch_execz .LBB3_365
; %bb.364:
	v_pk_mov_b32 v[10:11], s[16:17], s[16:17] op_sel:[0,1]
	v_mov_b32_e32 v12, 2
	v_mov_b32_e32 v13, 1
	global_store_dwordx4 v[8:9], v[10:13], off offset:8
.LBB3_365:
	s_or_b64 exec, exec, s[20:21]
	s_lshl_b64 s[16:17], s[18:19], 12
	v_mov_b32_e32 v2, s17
	v_add_co_u32_e32 v6, vcc, s16, v6
	v_addc_co_u32_e32 v7, vcc, v7, v2, vcc
	s_mov_b32 s16, 0
	s_movk_i32 s11, 0xff1d
	v_and_or_b32 v0, v0, s11, 34
	v_mov_b32_e32 v2, s30
	v_readfirstlane_b32 s20, v6
	v_readfirstlane_b32 s21, v7
	s_mov_b32 s17, s16
	s_mov_b32 s18, s16
	;; [unrolled: 1-line block ×3, first 2 shown]
	s_nop 1
	global_store_dwordx4 v29, v[0:3], s[20:21]
	s_nop 0
	v_pk_mov_b32 v[0:1], s[16:17], s[16:17] op_sel:[0,1]
	v_pk_mov_b32 v[2:3], s[18:19], s[18:19] op_sel:[0,1]
	global_store_dwordx4 v29, v[0:3], s[20:21] offset:16
	global_store_dwordx4 v29, v[0:3], s[20:21] offset:32
	;; [unrolled: 1-line block ×3, first 2 shown]
	s_and_saveexec_b64 s[16:17], s[0:1]
	s_cbranch_execz .LBB3_373
; %bb.366:
	v_mov_b32_e32 v6, 0
	global_load_dwordx2 v[12:13], v6, s[14:15] offset:32 glc
	global_load_dwordx2 v[0:1], v6, s[14:15] offset:40
	v_mov_b32_e32 v10, s2
	v_mov_b32_e32 v11, s3
	s_waitcnt vmcnt(0)
	v_readfirstlane_b32 s18, v0
	v_readfirstlane_b32 s19, v1
	s_and_b64 s[18:19], s[18:19], s[2:3]
	s_mul_i32 s11, s19, 24
	s_mul_hi_u32 s19, s18, 24
	s_mul_i32 s18, s18, 24
	s_add_i32 s11, s19, s11
	v_mov_b32_e32 v0, s11
	v_add_co_u32_e32 v4, vcc, s18, v4
	v_addc_co_u32_e32 v5, vcc, v5, v0, vcc
	global_store_dwordx2 v[4:5], v[12:13], off
	buffer_wbl2
	s_waitcnt vmcnt(0)
	global_atomic_cmpswap_x2 v[2:3], v6, v[10:13], s[14:15] offset:32 glc
	s_waitcnt vmcnt(0)
	v_cmp_ne_u64_e32 vcc, v[2:3], v[12:13]
	s_and_saveexec_b64 s[18:19], vcc
	s_cbranch_execz .LBB3_369
; %bb.367:
	s_mov_b64 s[20:21], 0
.LBB3_368:                              ; =>This Inner Loop Header: Depth=1
	s_sleep 1
	global_store_dwordx2 v[4:5], v[2:3], off
	v_mov_b32_e32 v0, s2
	v_mov_b32_e32 v1, s3
	buffer_wbl2
	s_waitcnt vmcnt(0)
	global_atomic_cmpswap_x2 v[0:1], v6, v[0:3], s[14:15] offset:32 glc
	s_waitcnt vmcnt(0)
	v_cmp_eq_u64_e32 vcc, v[0:1], v[2:3]
	s_or_b64 s[20:21], vcc, s[20:21]
	v_pk_mov_b32 v[2:3], v[0:1], v[0:1] op_sel:[0,1]
	s_andn2_b64 exec, exec, s[20:21]
	s_cbranch_execnz .LBB3_368
.LBB3_369:
	s_or_b64 exec, exec, s[18:19]
	v_mov_b32_e32 v3, 0
	global_load_dwordx2 v[0:1], v3, s[14:15] offset:16
	s_mov_b64 s[18:19], exec
	v_mbcnt_lo_u32_b32 v2, s18, 0
	v_mbcnt_hi_u32_b32 v2, s19, v2
	v_cmp_eq_u32_e32 vcc, 0, v2
	s_and_saveexec_b64 s[20:21], vcc
	s_cbranch_execz .LBB3_371
; %bb.370:
	s_bcnt1_i32_b64 s11, s[18:19]
	v_mov_b32_e32 v2, s11
	buffer_wbl2
	s_waitcnt vmcnt(0)
	global_atomic_add_x2 v[0:1], v[2:3], off offset:8
.LBB3_371:
	s_or_b64 exec, exec, s[20:21]
	s_waitcnt vmcnt(0)
	global_load_dwordx2 v[2:3], v[0:1], off offset:16
	s_waitcnt vmcnt(0)
	v_cmp_eq_u64_e32 vcc, 0, v[2:3]
	s_cbranch_vccnz .LBB3_373
; %bb.372:
	global_load_dword v0, v[0:1], off offset:24
	v_mov_b32_e32 v1, 0
	buffer_wbl2
	s_waitcnt vmcnt(0)
	global_store_dwordx2 v[2:3], v[0:1], off
	v_and_b32_e32 v0, 0xffffff, v0
	v_readfirstlane_b32 m0, v0
	s_sendmsg sendmsg(MSG_INTERRUPT)
.LBB3_373:
	s_or_b64 exec, exec, s[16:17]
	s_branch .LBB3_377
.LBB3_374:                              ;   in Loop: Header=BB3_377 Depth=1
	s_or_b64 exec, exec, s[16:17]
	v_readfirstlane_b32 s11, v0
	s_cmp_eq_u32 s11, 0
	s_cbranch_scc1 .LBB3_376
; %bb.375:                              ;   in Loop: Header=BB3_377 Depth=1
	s_sleep 1
	s_cbranch_execnz .LBB3_377
	s_branch .LBB3_379
.LBB3_376:
	s_branch .LBB3_379
.LBB3_377:                              ; =>This Inner Loop Header: Depth=1
	v_mov_b32_e32 v0, 1
	s_and_saveexec_b64 s[16:17], s[0:1]
	s_cbranch_execz .LBB3_374
; %bb.378:                              ;   in Loop: Header=BB3_377 Depth=1
	global_load_dword v0, v[8:9], off offset:20 glc
	s_waitcnt vmcnt(0)
	buffer_invl2
	buffer_wbinvl1_vol
	v_and_b32_e32 v0, 1, v0
	s_branch .LBB3_374
.LBB3_379:
	s_and_b64 exec, exec, s[0:1]
	s_cbranch_execz .LBB3_382
; %bb.380:
	v_mov_b32_e32 v6, 0
	global_load_dwordx2 v[4:5], v6, s[14:15] offset:40
	global_load_dwordx2 v[8:9], v6, s[14:15] offset:24 glc
	global_load_dwordx2 v[10:11], v6, s[14:15]
	v_mov_b32_e32 v1, s3
	s_mov_b64 s[0:1], 0
	s_waitcnt vmcnt(2)
	v_add_co_u32_e32 v3, vcc, 1, v4
	v_addc_co_u32_e32 v7, vcc, 0, v5, vcc
	v_add_co_u32_e32 v0, vcc, s2, v3
	v_addc_co_u32_e32 v1, vcc, v7, v1, vcc
	v_cmp_eq_u64_e32 vcc, 0, v[0:1]
	v_cndmask_b32_e32 v1, v1, v7, vcc
	v_cndmask_b32_e32 v0, v0, v3, vcc
	v_and_b32_e32 v3, v1, v5
	v_and_b32_e32 v4, v0, v4
	v_mul_lo_u32 v3, v3, 24
	v_mul_hi_u32 v5, v4, 24
	v_mul_lo_u32 v4, v4, 24
	v_add_u32_e32 v3, v5, v3
	s_waitcnt vmcnt(0)
	v_add_co_u32_e32 v4, vcc, v10, v4
	v_addc_co_u32_e32 v5, vcc, v11, v3, vcc
	v_mov_b32_e32 v2, v8
	global_store_dwordx2 v[4:5], v[8:9], off
	v_mov_b32_e32 v3, v9
	buffer_wbl2
	s_waitcnt vmcnt(0)
	global_atomic_cmpswap_x2 v[2:3], v6, v[0:3], s[14:15] offset:24 glc
	s_waitcnt vmcnt(0)
	v_cmp_ne_u64_e32 vcc, v[2:3], v[8:9]
	s_and_b64 exec, exec, vcc
	s_cbranch_execz .LBB3_382
.LBB3_381:                              ; =>This Inner Loop Header: Depth=1
	s_sleep 1
	global_store_dwordx2 v[4:5], v[2:3], off
	buffer_wbl2
	s_waitcnt vmcnt(0)
	global_atomic_cmpswap_x2 v[8:9], v6, v[0:3], s[14:15] offset:24 glc
	s_waitcnt vmcnt(0)
	v_cmp_eq_u64_e32 vcc, v[8:9], v[2:3]
	s_or_b64 s[0:1], vcc, s[0:1]
	v_pk_mov_b32 v[2:3], v[8:9], v[8:9] op_sel:[0,1]
	s_andn2_b64 exec, exec, s[0:1]
	s_cbranch_execnz .LBB3_381
.LBB3_382:
	s_or_b64 exec, exec, s[6:7]
	s_waitcnt lgkmcnt(0)
	s_bcnt1_i32_b32 s0, s30
	s_mov_b32 s22, 1
	s_mov_b32 s15, 0
	s_cmp_lg_u32 s0, 1
	v_pk_mov_b32 v[0:1], 0, 0
	v_mov_b32_e32 v39, 0
	v_mov_b32_e32 v2, 0
	s_waitcnt vmcnt(0)
	buffer_wbinvl1_vol
	s_cbranch_scc1 .LBB3_394
; %bb.383:
	v_cvt_f32_u32_e32 v0, s30
	s_sub_i32 s0, 0, s30
	v_mov_b32_e32 v3, 0
	s_mov_b32 s18, 0
	v_rcp_iflag_f32_e32 v0, v0
	v_mul_f32_e32 v0, 0x4f7ffffe, v0
	v_cvt_u32_f32_e32 v2, v0
	v_pk_mov_b32 v[0:1], 0, 0
	v_readfirstlane_b32 s1, v2
	s_mul_i32 s0, s0, s1
	s_mul_hi_u32 s0, s1, s0
	s_add_i32 s11, s1, s0
	v_mul_hi_u32 v2, v36, s11
	v_mul_lo_u32 v4, v2, s30
	v_sub_u32_e32 v4, v36, v4
	v_subrev_u32_e32 v5, s30, v4
	v_cmp_le_u32_e32 vcc, s30, v4
	v_cndmask_b32_e32 v4, v4, v5, vcc
	v_subrev_u32_e32 v5, s30, v4
	v_cmp_le_u32_e64 s[0:1], s30, v4
	v_cndmask_b32_e64 v4, v4, v5, s[0:1]
	v_sub_u32_e32 v4, v36, v4
	s_branch .LBB3_385
.LBB3_384:                              ;   in Loop: Header=BB3_385 Depth=1
	s_add_i32 s18, s18, 4
	s_cmp_eq_u32 s18, 64
	s_cbranch_scc1 .LBB3_393
.LBB3_385:                              ; =>This Inner Loop Header: Depth=1
	s_lshl_b32 s14, 1, s18
	s_and_b64 s[16:17], s[12:13], s[14:15]
	s_cmp_eq_u64 s[16:17], 0
	s_cbranch_scc1 .LBB3_387
; %bb.386:                              ;   in Loop: Header=BB3_385 Depth=1
	v_cmp_gt_i32_e64 s[2:3], 1, v4
	v_cmp_gt_u32_e64 s[6:7], s30, v3
	v_mov_b32_e32 v5, s17
	s_and_b64 s[2:3], s[2:3], s[6:7]
	v_mov_b32_e32 v6, s16
	v_cndmask_b32_e64 v5, 0, v5, s[2:3]
	v_cndmask_b32_e64 v6, 0, v6, s[2:3]
	v_or_b32_e32 v1, v5, v1
	v_or_b32_e32 v0, v6, v0
	v_addc_co_u32_e64 v3, s[2:3], 0, v3, s[2:3]
	v_add_u32_e32 v4, -1, v4
.LBB3_387:                              ;   in Loop: Header=BB3_385 Depth=1
	s_lshl_b32 s14, 2, s18
	s_and_b64 s[16:17], s[12:13], s[14:15]
	s_cmp_eq_u64 s[16:17], 0
	s_cbranch_scc1 .LBB3_389
; %bb.388:                              ;   in Loop: Header=BB3_385 Depth=1
	v_cmp_gt_i32_e64 s[2:3], 1, v4
	v_cmp_gt_u32_e64 s[6:7], s30, v3
	v_mov_b32_e32 v5, s17
	s_and_b64 s[2:3], s[2:3], s[6:7]
	v_mov_b32_e32 v6, s16
	v_cndmask_b32_e64 v5, 0, v5, s[2:3]
	v_cndmask_b32_e64 v6, 0, v6, s[2:3]
	v_or_b32_e32 v1, v5, v1
	v_or_b32_e32 v0, v6, v0
	v_addc_co_u32_e64 v3, s[2:3], 0, v3, s[2:3]
	v_add_u32_e32 v4, -1, v4
.LBB3_389:                              ;   in Loop: Header=BB3_385 Depth=1
	;; [unrolled: 17-line block ×3, first 2 shown]
	s_lshl_b32 s2, 8, s18
	s_ashr_i32 s3, s2, 31
	s_and_b64 s[16:17], s[12:13], s[2:3]
	s_cmp_eq_u64 s[16:17], 0
	s_cbranch_scc1 .LBB3_384
; %bb.392:                              ;   in Loop: Header=BB3_385 Depth=1
	v_cmp_gt_i32_e64 s[2:3], 1, v4
	v_cmp_gt_u32_e64 s[6:7], s30, v3
	v_mov_b32_e32 v5, s17
	s_and_b64 s[2:3], s[2:3], s[6:7]
	v_mov_b32_e32 v6, s16
	v_cndmask_b32_e64 v5, 0, v5, s[2:3]
	v_cndmask_b32_e64 v6, 0, v6, s[2:3]
	v_or_b32_e32 v1, v5, v1
	v_or_b32_e32 v0, v6, v0
	v_addc_co_u32_e64 v3, s[2:3], 0, v3, s[2:3]
	v_add_u32_e32 v4, -1, v4
	s_branch .LBB3_384
.LBB3_393:
	v_bcnt_u32_b32 v3, v0, 0
	v_bcnt_u32_b32 v39, v1, v3
	v_add_u32_e32 v3, 1, v2
	s_add_i32 s2, s30, s10
	v_cndmask_b32_e32 v2, v2, v3, vcc
	s_add_i32 s2, s2, -1
	v_add_u32_e32 v3, 1, v2
	v_cndmask_b32_e64 v2, v2, v3, s[0:1]
	s_mul_hi_u32 s0, s2, s11
	s_mul_i32 s1, s0, s30
	s_sub_i32 s1, s2, s1
	s_add_i32 s2, s0, 1
	s_sub_i32 s3, s1, s30
	s_cmp_ge_u32 s1, s30
	s_cselect_b32 s0, s2, s0
	s_cselect_b32 s1, s3, s1
	s_add_i32 s2, s0, 1
	s_cmp_ge_u32 s1, s30
	s_cselect_b32 s22, s2, s0
.LBB3_394:
	v_mbcnt_lo_u32_b32 v0, v0, 0
	v_mbcnt_hi_u32_b32 v6, v1, v0
	v_cmp_lt_u32_e32 vcc, 1, v39
	v_mov_b32_e32 v3, v36
	s_and_saveexec_b64 s[0:1], vcc
	s_cbranch_execz .LBB3_400
; %bb.395:
	v_sub_u32_e32 v0, v36, v6
	v_ashrrev_i32_e32 v1, 31, v0
	v_lshlrev_b64 v[0:1], 2, v[0:1]
	v_mov_b32_e32 v3, s31
	v_add_co_u32_e32 v0, vcc, s33, v0
	v_addc_co_u32_e32 v3, vcc, v3, v1, vcc
	v_lshlrev_b32_e32 v4, 2, v6
	v_add_co_u32_e32 v4, vcc, v0, v4
	v_mov_b32_e32 v1, 0
	v_addc_co_u32_e32 v5, vcc, 0, v3, vcc
	s_mov_b64 s[2:3], 0
	v_mov_b32_e32 v7, v39
	v_mov_b32_e32 v3, v36
	s_branch .LBB3_397
.LBB3_396:                              ;   in Loop: Header=BB3_397 Depth=1
	s_or_b64 exec, exec, s[6:7]
	v_cmp_gt_u32_e32 vcc, 4, v7
	s_or_b64 s[2:3], vcc, s[2:3]
	v_mov_b32_e32 v7, v0
	buffer_wbinvl1_vol
	s_andn2_b64 exec, exec, s[2:3]
	s_cbranch_execz .LBB3_399
.LBB3_397:                              ; =>This Inner Loop Header: Depth=1
	v_lshrrev_b32_e32 v0, 1, v7
	v_cmp_lt_i32_e32 vcc, v6, v0
	flat_store_dword v[4:5], v3
	s_waitcnt vmcnt(0) lgkmcnt(0)
	buffer_wbinvl1_vol
	s_and_saveexec_b64 s[6:7], vcc
	s_cbranch_execz .LBB3_396
; %bb.398:                              ;   in Loop: Header=BB3_397 Depth=1
	v_lshlrev_b64 v[8:9], 2, v[0:1]
	v_add_co_u32_e32 v8, vcc, v4, v8
	v_addc_co_u32_e32 v9, vcc, v5, v9, vcc
	flat_load_dword v8, v[8:9]
	s_waitcnt vmcnt(0) lgkmcnt(0)
	v_add_u32_e32 v3, v8, v3
	s_branch .LBB3_396
.LBB3_399:
	s_or_b64 exec, exec, s[2:3]
.LBB3_400:
	s_or_b64 exec, exec, s[0:1]
	v_cmp_eq_u32_e64 s[0:1], 0, v6
	s_and_b64 exec, exec, s[0:1]
	s_cbranch_execz .LBB3_643
; %bb.401:
	s_load_dwordx2 s[6:7], s[8:9], 0x50
	v_mbcnt_lo_u32_b32 v0, -1, 0
	v_mbcnt_hi_u32_b32 v38, -1, v0
	v_readfirstlane_b32 s2, v38
	v_cmp_eq_u32_e64 s[2:3], s2, v38
	v_pk_mov_b32 v[0:1], 0, 0
	s_and_saveexec_b64 s[8:9], s[2:3]
	s_cbranch_execz .LBB3_407
; %bb.402:
	v_mov_b32_e32 v4, 0
	s_waitcnt lgkmcnt(0)
	global_load_dwordx2 v[8:9], v4, s[6:7] offset:24 glc
	s_waitcnt vmcnt(0)
	buffer_invl2
	buffer_wbinvl1_vol
	global_load_dwordx2 v[0:1], v4, s[6:7] offset:40
	global_load_dwordx2 v[6:7], v4, s[6:7]
	s_waitcnt vmcnt(1)
	v_and_b32_e32 v0, v0, v8
	v_and_b32_e32 v1, v1, v9
	v_mul_lo_u32 v1, v1, 24
	v_mul_hi_u32 v5, v0, 24
	v_mul_lo_u32 v0, v0, 24
	v_add_u32_e32 v1, v5, v1
	s_waitcnt vmcnt(0)
	v_add_co_u32_e32 v0, vcc, v6, v0
	v_addc_co_u32_e32 v1, vcc, v7, v1, vcc
	global_load_dwordx2 v[6:7], v[0:1], off glc
	s_waitcnt vmcnt(0)
	global_atomic_cmpswap_x2 v[0:1], v4, v[6:9], s[6:7] offset:24 glc
	s_waitcnt vmcnt(0)
	buffer_invl2
	buffer_wbinvl1_vol
	v_cmp_ne_u64_e32 vcc, v[0:1], v[8:9]
	s_and_saveexec_b64 s[10:11], vcc
	s_cbranch_execz .LBB3_406
; %bb.403:
	s_mov_b64 s[12:13], 0
.LBB3_404:                              ; =>This Inner Loop Header: Depth=1
	s_sleep 1
	global_load_dwordx2 v[6:7], v4, s[6:7] offset:40
	global_load_dwordx2 v[10:11], v4, s[6:7]
	v_pk_mov_b32 v[8:9], v[0:1], v[0:1] op_sel:[0,1]
	s_waitcnt vmcnt(1)
	v_and_b32_e32 v0, v6, v8
	s_waitcnt vmcnt(0)
	v_mad_u64_u32 v[0:1], s[14:15], v0, 24, v[10:11]
	v_and_b32_e32 v5, v7, v9
	v_mov_b32_e32 v6, v1
	v_mad_u64_u32 v[6:7], s[14:15], v5, 24, v[6:7]
	v_mov_b32_e32 v1, v6
	global_load_dwordx2 v[6:7], v[0:1], off glc
	s_waitcnt vmcnt(0)
	global_atomic_cmpswap_x2 v[0:1], v4, v[6:9], s[6:7] offset:24 glc
	s_waitcnt vmcnt(0)
	buffer_invl2
	buffer_wbinvl1_vol
	v_cmp_eq_u64_e32 vcc, v[0:1], v[8:9]
	s_or_b64 s[12:13], vcc, s[12:13]
	s_andn2_b64 exec, exec, s[12:13]
	s_cbranch_execnz .LBB3_404
; %bb.405:
	s_or_b64 exec, exec, s[12:13]
.LBB3_406:
	s_or_b64 exec, exec, s[10:11]
.LBB3_407:
	s_or_b64 exec, exec, s[8:9]
	v_mov_b32_e32 v9, 0
	s_waitcnt lgkmcnt(0)
	global_load_dwordx2 v[10:11], v9, s[6:7] offset:40
	global_load_dwordx4 v[4:7], v9, s[6:7]
	v_readfirstlane_b32 s8, v0
	v_readfirstlane_b32 s9, v1
	s_mov_b64 s[10:11], exec
	s_waitcnt vmcnt(1)
	v_readfirstlane_b32 s12, v10
	v_readfirstlane_b32 s13, v11
	s_and_b64 s[12:13], s[8:9], s[12:13]
	s_mul_i32 s14, s13, 24
	s_mul_hi_u32 s15, s12, 24
	s_mul_i32 s16, s12, 24
	s_add_i32 s14, s15, s14
	v_mov_b32_e32 v1, s14
	s_waitcnt vmcnt(0)
	v_add_co_u32_e32 v0, vcc, s16, v4
	v_addc_co_u32_e32 v1, vcc, v5, v1, vcc
	s_and_saveexec_b64 s[14:15], s[2:3]
	s_cbranch_execz .LBB3_409
; %bb.408:
	v_pk_mov_b32 v[10:11], s[10:11], s[10:11] op_sel:[0,1]
	v_mov_b32_e32 v12, 2
	v_mov_b32_e32 v13, 1
	global_store_dwordx4 v[0:1], v[10:13], off offset:8
.LBB3_409:
	s_or_b64 exec, exec, s[14:15]
	s_lshl_b64 s[10:11], s[12:13], 12
	v_mov_b32_e32 v8, s11
	v_add_co_u32_e32 v6, vcc, s10, v6
	v_addc_co_u32_e32 v7, vcc, v7, v8, vcc
	s_mov_b32 s12, 0
	v_lshlrev_b32_e32 v37, 6, v38
	v_add_co_u32_e32 v12, vcc, v6, v37
	v_mov_b32_e32 v8, 33
	v_mov_b32_e32 v10, v9
	;; [unrolled: 1-line block ×3, first 2 shown]
	v_readfirstlane_b32 s10, v6
	v_readfirstlane_b32 s11, v7
	s_mov_b32 s13, s12
	v_addc_co_u32_e32 v13, vcc, 0, v7, vcc
	s_mov_b32 s14, s12
	s_mov_b32 s15, s12
	s_nop 0
	global_store_dwordx4 v37, v[8:11], s[10:11]
	v_pk_mov_b32 v[6:7], s[12:13], s[12:13] op_sel:[0,1]
	v_pk_mov_b32 v[8:9], s[14:15], s[14:15] op_sel:[0,1]
	global_store_dwordx4 v37, v[6:9], s[10:11] offset:16
	global_store_dwordx4 v37, v[6:9], s[10:11] offset:32
	;; [unrolled: 1-line block ×3, first 2 shown]
	s_and_saveexec_b64 s[10:11], s[2:3]
	s_cbranch_execz .LBB3_417
; %bb.410:
	v_mov_b32_e32 v10, 0
	global_load_dwordx2 v[16:17], v10, s[6:7] offset:32 glc
	global_load_dwordx2 v[6:7], v10, s[6:7] offset:40
	v_mov_b32_e32 v14, s8
	v_mov_b32_e32 v15, s9
	s_waitcnt vmcnt(0)
	v_and_b32_e32 v6, s8, v6
	v_and_b32_e32 v7, s9, v7
	v_mul_lo_u32 v7, v7, 24
	v_mul_hi_u32 v8, v6, 24
	v_mul_lo_u32 v6, v6, 24
	v_add_u32_e32 v7, v8, v7
	v_add_co_u32_e32 v8, vcc, v4, v6
	v_addc_co_u32_e32 v9, vcc, v5, v7, vcc
	global_store_dwordx2 v[8:9], v[16:17], off
	buffer_wbl2
	s_waitcnt vmcnt(0)
	global_atomic_cmpswap_x2 v[6:7], v10, v[14:17], s[6:7] offset:32 glc
	s_waitcnt vmcnt(0)
	v_cmp_ne_u64_e32 vcc, v[6:7], v[16:17]
	s_and_saveexec_b64 s[12:13], vcc
	s_cbranch_execz .LBB3_413
; %bb.411:
	s_mov_b64 s[14:15], 0
.LBB3_412:                              ; =>This Inner Loop Header: Depth=1
	s_sleep 1
	global_store_dwordx2 v[8:9], v[6:7], off
	v_mov_b32_e32 v4, s8
	v_mov_b32_e32 v5, s9
	buffer_wbl2
	s_waitcnt vmcnt(0)
	global_atomic_cmpswap_x2 v[4:5], v10, v[4:7], s[6:7] offset:32 glc
	s_waitcnt vmcnt(0)
	v_cmp_eq_u64_e32 vcc, v[4:5], v[6:7]
	s_or_b64 s[14:15], vcc, s[14:15]
	v_pk_mov_b32 v[6:7], v[4:5], v[4:5] op_sel:[0,1]
	s_andn2_b64 exec, exec, s[14:15]
	s_cbranch_execnz .LBB3_412
.LBB3_413:
	s_or_b64 exec, exec, s[12:13]
	v_mov_b32_e32 v7, 0
	global_load_dwordx2 v[4:5], v7, s[6:7] offset:16
	s_mov_b64 s[12:13], exec
	v_mbcnt_lo_u32_b32 v6, s12, 0
	v_mbcnt_hi_u32_b32 v6, s13, v6
	v_cmp_eq_u32_e32 vcc, 0, v6
	s_and_saveexec_b64 s[14:15], vcc
	s_cbranch_execz .LBB3_415
; %bb.414:
	s_bcnt1_i32_b64 s12, s[12:13]
	v_mov_b32_e32 v6, s12
	buffer_wbl2
	s_waitcnt vmcnt(0)
	global_atomic_add_x2 v[4:5], v[6:7], off offset:8
.LBB3_415:
	s_or_b64 exec, exec, s[14:15]
	s_waitcnt vmcnt(0)
	global_load_dwordx2 v[6:7], v[4:5], off offset:16
	s_waitcnt vmcnt(0)
	v_cmp_eq_u64_e32 vcc, 0, v[6:7]
	s_cbranch_vccnz .LBB3_417
; %bb.416:
	global_load_dword v4, v[4:5], off offset:24
	v_mov_b32_e32 v5, 0
	buffer_wbl2
	s_waitcnt vmcnt(0)
	global_store_dwordx2 v[6:7], v[4:5], off
	v_and_b32_e32 v4, 0xffffff, v4
	v_readfirstlane_b32 m0, v4
	s_sendmsg sendmsg(MSG_INTERRUPT)
.LBB3_417:
	s_or_b64 exec, exec, s[10:11]
	s_branch .LBB3_421
.LBB3_418:                              ;   in Loop: Header=BB3_421 Depth=1
	s_or_b64 exec, exec, s[10:11]
	v_readfirstlane_b32 s10, v4
	s_cmp_eq_u32 s10, 0
	s_cbranch_scc1 .LBB3_420
; %bb.419:                              ;   in Loop: Header=BB3_421 Depth=1
	s_sleep 1
	s_cbranch_execnz .LBB3_421
	s_branch .LBB3_423
.LBB3_420:
	s_branch .LBB3_423
.LBB3_421:                              ; =>This Inner Loop Header: Depth=1
	v_mov_b32_e32 v4, 1
	s_and_saveexec_b64 s[10:11], s[2:3]
	s_cbranch_execz .LBB3_418
; %bb.422:                              ;   in Loop: Header=BB3_421 Depth=1
	global_load_dword v4, v[0:1], off offset:20 glc
	s_waitcnt vmcnt(0)
	buffer_invl2
	buffer_wbinvl1_vol
	v_and_b32_e32 v4, 1, v4
	s_branch .LBB3_418
.LBB3_423:
	global_load_dwordx2 v[4:5], v[12:13], off
	s_and_saveexec_b64 s[10:11], s[2:3]
	s_cbranch_execz .LBB3_426
; %bb.424:
	v_mov_b32_e32 v10, 0
	global_load_dwordx2 v[0:1], v10, s[6:7] offset:40
	global_load_dwordx2 v[12:13], v10, s[6:7] offset:24 glc
	global_load_dwordx2 v[14:15], v10, s[6:7]
	v_mov_b32_e32 v7, s9
	s_mov_b64 s[2:3], 0
	s_waitcnt vmcnt(2)
	v_add_co_u32_e32 v9, vcc, 1, v0
	v_addc_co_u32_e32 v11, vcc, 0, v1, vcc
	v_add_co_u32_e32 v6, vcc, s8, v9
	v_addc_co_u32_e32 v7, vcc, v11, v7, vcc
	v_cmp_eq_u64_e32 vcc, 0, v[6:7]
	v_cndmask_b32_e32 v7, v7, v11, vcc
	v_cndmask_b32_e32 v6, v6, v9, vcc
	v_and_b32_e32 v1, v7, v1
	v_and_b32_e32 v0, v6, v0
	v_mul_lo_u32 v1, v1, 24
	v_mul_hi_u32 v9, v0, 24
	v_mul_lo_u32 v0, v0, 24
	v_add_u32_e32 v1, v9, v1
	s_waitcnt vmcnt(0)
	v_add_co_u32_e32 v0, vcc, v14, v0
	v_addc_co_u32_e32 v1, vcc, v15, v1, vcc
	v_mov_b32_e32 v8, v12
	global_store_dwordx2 v[0:1], v[12:13], off
	v_mov_b32_e32 v9, v13
	buffer_wbl2
	s_waitcnt vmcnt(0)
	global_atomic_cmpswap_x2 v[8:9], v10, v[6:9], s[6:7] offset:24 glc
	s_waitcnt vmcnt(0)
	v_cmp_ne_u64_e32 vcc, v[8:9], v[12:13]
	s_and_b64 exec, exec, vcc
	s_cbranch_execz .LBB3_426
.LBB3_425:                              ; =>This Inner Loop Header: Depth=1
	s_sleep 1
	global_store_dwordx2 v[0:1], v[8:9], off
	buffer_wbl2
	s_waitcnt vmcnt(0)
	global_atomic_cmpswap_x2 v[12:13], v10, v[6:9], s[6:7] offset:24 glc
	s_waitcnt vmcnt(0)
	v_cmp_eq_u64_e32 vcc, v[12:13], v[8:9]
	s_or_b64 s[2:3], vcc, s[2:3]
	v_pk_mov_b32 v[8:9], v[12:13], v[12:13] op_sel:[0,1]
	s_andn2_b64 exec, exec, s[2:3]
	s_cbranch_execnz .LBB3_425
.LBB3_426:
	s_or_b64 exec, exec, s[10:11]
	s_getpc_b64 s[8:9]
	s_add_u32 s8, s8, .str.2@rel32@lo+4
	s_addc_u32 s9, s9, .str.2@rel32@hi+12
	s_cmp_lg_u64 s[8:9], 0
	s_cselect_b64 s[2:3], -1, 0
	s_cmp_eq_u64 s[8:9], 0
	s_mov_b64 s[8:9], 0
	s_cbranch_scc1 .LBB3_430
; %bb.427:
	v_mov_b32_e32 v0, 0
	s_getpc_b64 s[8:9]
	s_add_u32 s8, s8, .str.2@rel32@lo+3
	s_addc_u32 s9, s9, .str.2@rel32@hi+11
.LBB3_428:                              ; =>This Inner Loop Header: Depth=1
	global_load_ubyte v1, v0, s[8:9] offset:1
	s_add_u32 s10, s8, 1
	s_addc_u32 s11, s9, 0
	s_mov_b64 s[8:9], s[10:11]
	s_waitcnt vmcnt(0)
	v_cmp_ne_u16_e32 vcc, 0, v1
	s_cbranch_vccnz .LBB3_428
; %bb.429:
	s_getpc_b64 s[8:9]
	s_add_u32 s8, s8, .str.2@rel32@lo+4
	s_addc_u32 s9, s9, .str.2@rel32@hi+12
	s_sub_u32 s8, s10, s8
	s_subb_u32 s9, s11, s9
	s_add_u32 s8, s8, 1
	s_addc_u32 s9, s9, 0
.LBB3_430:
	s_and_b64 vcc, exec, s[2:3]
	s_cbranch_vccz .LBB3_515
; %bb.431:
	s_waitcnt vmcnt(0)
	v_and_b32_e32 v0, 2, v4
	v_mov_b32_e32 v33, 0
	v_and_b32_e32 v6, -3, v4
	v_mov_b32_e32 v7, v5
	v_mov_b32_e32 v10, 2
	;; [unrolled: 1-line block ×3, first 2 shown]
	s_getpc_b64 s[10:11]
	s_add_u32 s10, s10, .str.2@rel32@lo+4
	s_addc_u32 s11, s11, .str.2@rel32@hi+12
	s_branch .LBB3_433
.LBB3_432:                              ;   in Loop: Header=BB3_433 Depth=1
	s_or_b64 exec, exec, s[16:17]
	s_sub_u32 s8, s8, s12
	s_subb_u32 s9, s9, s13
	s_add_u32 s10, s10, s12
	s_addc_u32 s11, s11, s13
	s_cmp_lg_u64 s[8:9], 0
	s_cbranch_scc0 .LBB3_514
.LBB3_433:                              ; =>This Loop Header: Depth=1
                                        ;     Child Loop BB3_436 Depth 2
                                        ;     Child Loop BB3_443 Depth 2
	;; [unrolled: 1-line block ×11, first 2 shown]
	v_cmp_lt_u64_e64 s[2:3], s[8:9], 56
	s_and_b64 s[2:3], s[2:3], exec
	v_cmp_gt_u64_e64 s[2:3], s[8:9], 7
	s_cselect_b32 s13, s9, 0
	s_cselect_b32 s12, s8, 56
	s_and_b64 vcc, exec, s[2:3]
	s_cbranch_vccnz .LBB3_438
; %bb.434:                              ;   in Loop: Header=BB3_433 Depth=1
	s_mov_b64 s[2:3], 0
	s_cmp_eq_u64 s[8:9], 0
	v_pk_mov_b32 v[14:15], 0, 0
	s_cbranch_scc1 .LBB3_437
; %bb.435:                              ;   in Loop: Header=BB3_433 Depth=1
	s_lshl_b64 s[14:15], s[12:13], 3
	s_mov_b64 s[16:17], 0
	v_pk_mov_b32 v[14:15], 0, 0
	s_mov_b64 s[18:19], s[10:11]
.LBB3_436:                              ;   Parent Loop BB3_433 Depth=1
                                        ; =>  This Inner Loop Header: Depth=2
	global_load_ubyte v1, v33, s[18:19]
	s_waitcnt vmcnt(0)
	v_and_b32_e32 v32, 0xffff, v1
	v_lshlrev_b64 v[8:9], s16, v[32:33]
	s_add_u32 s16, s16, 8
	s_addc_u32 s17, s17, 0
	s_add_u32 s18, s18, 1
	s_addc_u32 s19, s19, 0
	v_or_b32_e32 v14, v8, v14
	s_cmp_lg_u32 s14, s16
	v_or_b32_e32 v15, v9, v15
	s_cbranch_scc1 .LBB3_436
.LBB3_437:                              ;   in Loop: Header=BB3_433 Depth=1
	s_mov_b32 s18, 0
	s_andn2_b64 vcc, exec, s[2:3]
	s_mov_b64 s[2:3], s[10:11]
	s_cbranch_vccz .LBB3_439
	s_branch .LBB3_440
.LBB3_438:                              ;   in Loop: Header=BB3_433 Depth=1
                                        ; implicit-def: $vgpr14_vgpr15
                                        ; implicit-def: $sgpr18
	s_mov_b64 s[2:3], s[10:11]
.LBB3_439:                              ;   in Loop: Header=BB3_433 Depth=1
	global_load_dwordx2 v[14:15], v33, s[10:11]
	s_add_i32 s18, s12, -8
	s_add_u32 s2, s10, 8
	s_addc_u32 s3, s11, 0
.LBB3_440:                              ;   in Loop: Header=BB3_433 Depth=1
	s_cmp_gt_u32 s18, 7
	s_cbranch_scc1 .LBB3_444
; %bb.441:                              ;   in Loop: Header=BB3_433 Depth=1
	s_cmp_eq_u32 s18, 0
	s_cbranch_scc1 .LBB3_445
; %bb.442:                              ;   in Loop: Header=BB3_433 Depth=1
	s_mov_b64 s[14:15], 0
	v_pk_mov_b32 v[16:17], 0, 0
	s_mov_b64 s[16:17], 0
.LBB3_443:                              ;   Parent Loop BB3_433 Depth=1
                                        ; =>  This Inner Loop Header: Depth=2
	s_add_u32 s20, s2, s16
	s_addc_u32 s21, s3, s17
	global_load_ubyte v1, v33, s[20:21]
	s_add_u32 s16, s16, 1
	s_addc_u32 s17, s17, 0
	s_waitcnt vmcnt(0)
	v_and_b32_e32 v32, 0xffff, v1
	v_lshlrev_b64 v[8:9], s14, v[32:33]
	s_add_u32 s14, s14, 8
	s_addc_u32 s15, s15, 0
	v_or_b32_e32 v16, v8, v16
	s_cmp_lg_u32 s18, s16
	v_or_b32_e32 v17, v9, v17
	s_cbranch_scc1 .LBB3_443
	s_branch .LBB3_446
.LBB3_444:                              ;   in Loop: Header=BB3_433 Depth=1
                                        ; implicit-def: $vgpr16_vgpr17
                                        ; implicit-def: $sgpr19
	s_branch .LBB3_447
.LBB3_445:                              ;   in Loop: Header=BB3_433 Depth=1
	v_pk_mov_b32 v[16:17], 0, 0
.LBB3_446:                              ;   in Loop: Header=BB3_433 Depth=1
	s_mov_b32 s19, 0
	s_cbranch_execnz .LBB3_448
.LBB3_447:                              ;   in Loop: Header=BB3_433 Depth=1
	global_load_dwordx2 v[16:17], v33, s[2:3]
	s_add_i32 s19, s18, -8
	s_add_u32 s2, s2, 8
	s_addc_u32 s3, s3, 0
.LBB3_448:                              ;   in Loop: Header=BB3_433 Depth=1
	s_cmp_gt_u32 s19, 7
	s_cbranch_scc1 .LBB3_452
; %bb.449:                              ;   in Loop: Header=BB3_433 Depth=1
	s_cmp_eq_u32 s19, 0
	s_cbranch_scc1 .LBB3_453
; %bb.450:                              ;   in Loop: Header=BB3_433 Depth=1
	s_mov_b64 s[14:15], 0
	v_pk_mov_b32 v[18:19], 0, 0
	s_mov_b64 s[16:17], 0
.LBB3_451:                              ;   Parent Loop BB3_433 Depth=1
                                        ; =>  This Inner Loop Header: Depth=2
	s_add_u32 s20, s2, s16
	s_addc_u32 s21, s3, s17
	global_load_ubyte v1, v33, s[20:21]
	s_add_u32 s16, s16, 1
	s_addc_u32 s17, s17, 0
	s_waitcnt vmcnt(0)
	v_and_b32_e32 v32, 0xffff, v1
	v_lshlrev_b64 v[8:9], s14, v[32:33]
	s_add_u32 s14, s14, 8
	s_addc_u32 s15, s15, 0
	v_or_b32_e32 v18, v8, v18
	s_cmp_lg_u32 s19, s16
	v_or_b32_e32 v19, v9, v19
	s_cbranch_scc1 .LBB3_451
	s_branch .LBB3_454
.LBB3_452:                              ;   in Loop: Header=BB3_433 Depth=1
                                        ; implicit-def: $sgpr18
	s_branch .LBB3_455
.LBB3_453:                              ;   in Loop: Header=BB3_433 Depth=1
	v_pk_mov_b32 v[18:19], 0, 0
.LBB3_454:                              ;   in Loop: Header=BB3_433 Depth=1
	s_mov_b32 s18, 0
	s_cbranch_execnz .LBB3_456
.LBB3_455:                              ;   in Loop: Header=BB3_433 Depth=1
	global_load_dwordx2 v[18:19], v33, s[2:3]
	s_add_i32 s18, s19, -8
	s_add_u32 s2, s2, 8
	s_addc_u32 s3, s3, 0
.LBB3_456:                              ;   in Loop: Header=BB3_433 Depth=1
	s_cmp_gt_u32 s18, 7
	s_cbranch_scc1 .LBB3_460
; %bb.457:                              ;   in Loop: Header=BB3_433 Depth=1
	s_cmp_eq_u32 s18, 0
	s_cbranch_scc1 .LBB3_461
; %bb.458:                              ;   in Loop: Header=BB3_433 Depth=1
	s_mov_b64 s[14:15], 0
	v_pk_mov_b32 v[20:21], 0, 0
	s_mov_b64 s[16:17], 0
.LBB3_459:                              ;   Parent Loop BB3_433 Depth=1
                                        ; =>  This Inner Loop Header: Depth=2
	s_add_u32 s20, s2, s16
	s_addc_u32 s21, s3, s17
	global_load_ubyte v1, v33, s[20:21]
	s_add_u32 s16, s16, 1
	s_addc_u32 s17, s17, 0
	s_waitcnt vmcnt(0)
	v_and_b32_e32 v32, 0xffff, v1
	v_lshlrev_b64 v[8:9], s14, v[32:33]
	s_add_u32 s14, s14, 8
	s_addc_u32 s15, s15, 0
	v_or_b32_e32 v20, v8, v20
	s_cmp_lg_u32 s18, s16
	v_or_b32_e32 v21, v9, v21
	s_cbranch_scc1 .LBB3_459
	s_branch .LBB3_462
.LBB3_460:                              ;   in Loop: Header=BB3_433 Depth=1
                                        ; implicit-def: $vgpr20_vgpr21
                                        ; implicit-def: $sgpr19
	s_branch .LBB3_463
.LBB3_461:                              ;   in Loop: Header=BB3_433 Depth=1
	v_pk_mov_b32 v[20:21], 0, 0
.LBB3_462:                              ;   in Loop: Header=BB3_433 Depth=1
	s_mov_b32 s19, 0
	s_cbranch_execnz .LBB3_464
.LBB3_463:                              ;   in Loop: Header=BB3_433 Depth=1
	global_load_dwordx2 v[20:21], v33, s[2:3]
	s_add_i32 s19, s18, -8
	s_add_u32 s2, s2, 8
	s_addc_u32 s3, s3, 0
.LBB3_464:                              ;   in Loop: Header=BB3_433 Depth=1
	s_cmp_gt_u32 s19, 7
	s_cbranch_scc1 .LBB3_468
; %bb.465:                              ;   in Loop: Header=BB3_433 Depth=1
	s_cmp_eq_u32 s19, 0
	s_cbranch_scc1 .LBB3_469
; %bb.466:                              ;   in Loop: Header=BB3_433 Depth=1
	s_mov_b64 s[14:15], 0
	v_pk_mov_b32 v[22:23], 0, 0
	s_mov_b64 s[16:17], 0
.LBB3_467:                              ;   Parent Loop BB3_433 Depth=1
                                        ; =>  This Inner Loop Header: Depth=2
	s_add_u32 s20, s2, s16
	s_addc_u32 s21, s3, s17
	global_load_ubyte v1, v33, s[20:21]
	s_add_u32 s16, s16, 1
	s_addc_u32 s17, s17, 0
	s_waitcnt vmcnt(0)
	v_and_b32_e32 v32, 0xffff, v1
	v_lshlrev_b64 v[8:9], s14, v[32:33]
	s_add_u32 s14, s14, 8
	s_addc_u32 s15, s15, 0
	v_or_b32_e32 v22, v8, v22
	s_cmp_lg_u32 s19, s16
	v_or_b32_e32 v23, v9, v23
	s_cbranch_scc1 .LBB3_467
	s_branch .LBB3_470
.LBB3_468:                              ;   in Loop: Header=BB3_433 Depth=1
                                        ; implicit-def: $sgpr18
	s_branch .LBB3_471
.LBB3_469:                              ;   in Loop: Header=BB3_433 Depth=1
	v_pk_mov_b32 v[22:23], 0, 0
.LBB3_470:                              ;   in Loop: Header=BB3_433 Depth=1
	s_mov_b32 s18, 0
	s_cbranch_execnz .LBB3_472
.LBB3_471:                              ;   in Loop: Header=BB3_433 Depth=1
	global_load_dwordx2 v[22:23], v33, s[2:3]
	s_add_i32 s18, s19, -8
	s_add_u32 s2, s2, 8
	s_addc_u32 s3, s3, 0
.LBB3_472:                              ;   in Loop: Header=BB3_433 Depth=1
	s_cmp_gt_u32 s18, 7
	s_cbranch_scc1 .LBB3_476
; %bb.473:                              ;   in Loop: Header=BB3_433 Depth=1
	s_cmp_eq_u32 s18, 0
	s_cbranch_scc1 .LBB3_477
; %bb.474:                              ;   in Loop: Header=BB3_433 Depth=1
	s_mov_b64 s[14:15], 0
	v_pk_mov_b32 v[24:25], 0, 0
	s_mov_b64 s[16:17], 0
.LBB3_475:                              ;   Parent Loop BB3_433 Depth=1
                                        ; =>  This Inner Loop Header: Depth=2
	s_add_u32 s20, s2, s16
	s_addc_u32 s21, s3, s17
	global_load_ubyte v1, v33, s[20:21]
	s_add_u32 s16, s16, 1
	s_addc_u32 s17, s17, 0
	s_waitcnt vmcnt(0)
	v_and_b32_e32 v32, 0xffff, v1
	v_lshlrev_b64 v[8:9], s14, v[32:33]
	s_add_u32 s14, s14, 8
	s_addc_u32 s15, s15, 0
	v_or_b32_e32 v24, v8, v24
	s_cmp_lg_u32 s18, s16
	v_or_b32_e32 v25, v9, v25
	s_cbranch_scc1 .LBB3_475
	s_branch .LBB3_478
.LBB3_476:                              ;   in Loop: Header=BB3_433 Depth=1
                                        ; implicit-def: $vgpr24_vgpr25
                                        ; implicit-def: $sgpr19
	s_branch .LBB3_479
.LBB3_477:                              ;   in Loop: Header=BB3_433 Depth=1
	v_pk_mov_b32 v[24:25], 0, 0
.LBB3_478:                              ;   in Loop: Header=BB3_433 Depth=1
	s_mov_b32 s19, 0
	s_cbranch_execnz .LBB3_480
.LBB3_479:                              ;   in Loop: Header=BB3_433 Depth=1
	global_load_dwordx2 v[24:25], v33, s[2:3]
	s_add_i32 s19, s18, -8
	s_add_u32 s2, s2, 8
	s_addc_u32 s3, s3, 0
.LBB3_480:                              ;   in Loop: Header=BB3_433 Depth=1
	s_cmp_gt_u32 s19, 7
	s_cbranch_scc1 .LBB3_484
; %bb.481:                              ;   in Loop: Header=BB3_433 Depth=1
	s_cmp_eq_u32 s19, 0
	s_cbranch_scc1 .LBB3_485
; %bb.482:                              ;   in Loop: Header=BB3_433 Depth=1
	s_mov_b64 s[14:15], 0
	v_pk_mov_b32 v[26:27], 0, 0
	s_mov_b64 s[16:17], s[2:3]
.LBB3_483:                              ;   Parent Loop BB3_433 Depth=1
                                        ; =>  This Inner Loop Header: Depth=2
	global_load_ubyte v1, v33, s[16:17]
	s_add_i32 s19, s19, -1
	s_waitcnt vmcnt(0)
	v_and_b32_e32 v32, 0xffff, v1
	v_lshlrev_b64 v[8:9], s14, v[32:33]
	s_add_u32 s14, s14, 8
	s_addc_u32 s15, s15, 0
	s_add_u32 s16, s16, 1
	s_addc_u32 s17, s17, 0
	v_or_b32_e32 v26, v8, v26
	s_cmp_lg_u32 s19, 0
	v_or_b32_e32 v27, v9, v27
	s_cbranch_scc1 .LBB3_483
	s_branch .LBB3_486
.LBB3_484:                              ;   in Loop: Header=BB3_433 Depth=1
	s_branch .LBB3_487
.LBB3_485:                              ;   in Loop: Header=BB3_433 Depth=1
	v_pk_mov_b32 v[26:27], 0, 0
.LBB3_486:                              ;   in Loop: Header=BB3_433 Depth=1
	s_cbranch_execnz .LBB3_488
.LBB3_487:                              ;   in Loop: Header=BB3_433 Depth=1
	global_load_dwordx2 v[26:27], v33, s[2:3]
.LBB3_488:                              ;   in Loop: Header=BB3_433 Depth=1
	v_readfirstlane_b32 s2, v38
	v_cmp_eq_u32_e64 s[2:3], s2, v38
	s_waitcnt vmcnt(0)
	v_pk_mov_b32 v[8:9], 0, 0
	s_and_saveexec_b64 s[14:15], s[2:3]
	s_cbranch_execz .LBB3_494
; %bb.489:                              ;   in Loop: Header=BB3_433 Depth=1
	global_load_dwordx2 v[30:31], v33, s[6:7] offset:24 glc
	s_waitcnt vmcnt(0)
	buffer_invl2
	buffer_wbinvl1_vol
	global_load_dwordx2 v[8:9], v33, s[6:7] offset:40
	global_load_dwordx2 v[12:13], v33, s[6:7]
	s_waitcnt vmcnt(1)
	v_and_b32_e32 v1, v8, v30
	v_and_b32_e32 v8, v9, v31
	v_mul_lo_u32 v8, v8, 24
	v_mul_hi_u32 v9, v1, 24
	v_mul_lo_u32 v1, v1, 24
	v_add_u32_e32 v9, v9, v8
	s_waitcnt vmcnt(0)
	v_add_co_u32_e32 v8, vcc, v12, v1
	v_addc_co_u32_e32 v9, vcc, v13, v9, vcc
	global_load_dwordx2 v[28:29], v[8:9], off glc
	s_waitcnt vmcnt(0)
	global_atomic_cmpswap_x2 v[8:9], v33, v[28:31], s[6:7] offset:24 glc
	s_waitcnt vmcnt(0)
	buffer_invl2
	buffer_wbinvl1_vol
	v_cmp_ne_u64_e32 vcc, v[8:9], v[30:31]
	s_and_saveexec_b64 s[16:17], vcc
	s_cbranch_execz .LBB3_493
; %bb.490:                              ;   in Loop: Header=BB3_433 Depth=1
	s_mov_b64 s[18:19], 0
.LBB3_491:                              ;   Parent Loop BB3_433 Depth=1
                                        ; =>  This Inner Loop Header: Depth=2
	s_sleep 1
	global_load_dwordx2 v[12:13], v33, s[6:7] offset:40
	global_load_dwordx2 v[28:29], v33, s[6:7]
	v_pk_mov_b32 v[30:31], v[8:9], v[8:9] op_sel:[0,1]
	s_waitcnt vmcnt(1)
	v_and_b32_e32 v8, v12, v30
	s_waitcnt vmcnt(0)
	v_mad_u64_u32 v[8:9], s[20:21], v8, 24, v[28:29]
	v_and_b32_e32 v1, v13, v31
	v_mov_b32_e32 v12, v9
	v_mad_u64_u32 v[12:13], s[20:21], v1, 24, v[12:13]
	v_mov_b32_e32 v9, v12
	global_load_dwordx2 v[28:29], v[8:9], off glc
	s_waitcnt vmcnt(0)
	global_atomic_cmpswap_x2 v[8:9], v33, v[28:31], s[6:7] offset:24 glc
	s_waitcnt vmcnt(0)
	buffer_invl2
	buffer_wbinvl1_vol
	v_cmp_eq_u64_e32 vcc, v[8:9], v[30:31]
	s_or_b64 s[18:19], vcc, s[18:19]
	s_andn2_b64 exec, exec, s[18:19]
	s_cbranch_execnz .LBB3_491
; %bb.492:                              ;   in Loop: Header=BB3_433 Depth=1
	s_or_b64 exec, exec, s[18:19]
.LBB3_493:                              ;   in Loop: Header=BB3_433 Depth=1
	s_or_b64 exec, exec, s[16:17]
.LBB3_494:                              ;   in Loop: Header=BB3_433 Depth=1
	s_or_b64 exec, exec, s[14:15]
	global_load_dwordx2 v[12:13], v33, s[6:7] offset:40
	global_load_dwordx4 v[28:31], v33, s[6:7]
	v_readfirstlane_b32 s14, v8
	v_readfirstlane_b32 s15, v9
	s_mov_b64 s[16:17], exec
	s_waitcnt vmcnt(1)
	v_readfirstlane_b32 s18, v12
	v_readfirstlane_b32 s19, v13
	s_and_b64 s[18:19], s[14:15], s[18:19]
	s_mul_i32 s20, s19, 24
	s_mul_hi_u32 s21, s18, 24
	s_mul_i32 s23, s18, 24
	s_add_i32 s20, s21, s20
	v_mov_b32_e32 v1, s20
	s_waitcnt vmcnt(0)
	v_add_co_u32_e32 v34, vcc, s23, v28
	v_addc_co_u32_e32 v35, vcc, v29, v1, vcc
	s_and_saveexec_b64 s[20:21], s[2:3]
	s_cbranch_execz .LBB3_496
; %bb.495:                              ;   in Loop: Header=BB3_433 Depth=1
	v_pk_mov_b32 v[8:9], s[16:17], s[16:17] op_sel:[0,1]
	global_store_dwordx4 v[34:35], v[8:11], off offset:8
.LBB3_496:                              ;   in Loop: Header=BB3_433 Depth=1
	s_or_b64 exec, exec, s[20:21]
	s_lshl_b64 s[16:17], s[18:19], 12
	v_mov_b32_e32 v1, s17
	v_add_co_u32_e32 v30, vcc, s16, v30
	v_addc_co_u32_e32 v1, vcc, v31, v1, vcc
	v_or_b32_e32 v9, v6, v0
	v_cmp_gt_u64_e64 vcc, s[8:9], 56
	s_lshl_b32 s16, s12, 2
	v_cndmask_b32_e32 v6, v9, v6, vcc
	s_add_i32 s16, s16, 28
	v_or_b32_e32 v8, 0, v7
	s_and_b32 s16, s16, 0x1e0
	v_and_b32_e32 v6, 0xffffff1f, v6
	v_cndmask_b32_e32 v13, v8, v7, vcc
	v_or_b32_e32 v12, s16, v6
	v_readfirstlane_b32 s16, v30
	v_readfirstlane_b32 s17, v1
	s_nop 4
	global_store_dwordx4 v37, v[12:15], s[16:17]
	global_store_dwordx4 v37, v[16:19], s[16:17] offset:16
	global_store_dwordx4 v37, v[20:23], s[16:17] offset:32
	;; [unrolled: 1-line block ×3, first 2 shown]
	s_and_saveexec_b64 s[16:17], s[2:3]
	s_cbranch_execz .LBB3_504
; %bb.497:                              ;   in Loop: Header=BB3_433 Depth=1
	global_load_dwordx2 v[16:17], v33, s[6:7] offset:32 glc
	global_load_dwordx2 v[6:7], v33, s[6:7] offset:40
	v_mov_b32_e32 v14, s14
	v_mov_b32_e32 v15, s15
	s_waitcnt vmcnt(0)
	v_readfirstlane_b32 s18, v6
	v_readfirstlane_b32 s19, v7
	s_and_b64 s[18:19], s[18:19], s[14:15]
	s_mul_i32 s19, s19, 24
	s_mul_hi_u32 s20, s18, 24
	s_mul_i32 s18, s18, 24
	s_add_i32 s19, s20, s19
	v_mov_b32_e32 v6, s19
	v_add_co_u32_e32 v12, vcc, s18, v28
	v_addc_co_u32_e32 v13, vcc, v29, v6, vcc
	global_store_dwordx2 v[12:13], v[16:17], off
	buffer_wbl2
	s_waitcnt vmcnt(0)
	global_atomic_cmpswap_x2 v[8:9], v33, v[14:17], s[6:7] offset:32 glc
	s_waitcnt vmcnt(0)
	v_cmp_ne_u64_e32 vcc, v[8:9], v[16:17]
	s_and_saveexec_b64 s[18:19], vcc
	s_cbranch_execz .LBB3_500
; %bb.498:                              ;   in Loop: Header=BB3_433 Depth=1
	s_mov_b64 s[20:21], 0
.LBB3_499:                              ;   Parent Loop BB3_433 Depth=1
                                        ; =>  This Inner Loop Header: Depth=2
	s_sleep 1
	global_store_dwordx2 v[12:13], v[8:9], off
	v_mov_b32_e32 v6, s14
	v_mov_b32_e32 v7, s15
	buffer_wbl2
	s_waitcnt vmcnt(0)
	global_atomic_cmpswap_x2 v[6:7], v33, v[6:9], s[6:7] offset:32 glc
	s_waitcnt vmcnt(0)
	v_cmp_eq_u64_e32 vcc, v[6:7], v[8:9]
	s_or_b64 s[20:21], vcc, s[20:21]
	v_pk_mov_b32 v[8:9], v[6:7], v[6:7] op_sel:[0,1]
	s_andn2_b64 exec, exec, s[20:21]
	s_cbranch_execnz .LBB3_499
.LBB3_500:                              ;   in Loop: Header=BB3_433 Depth=1
	s_or_b64 exec, exec, s[18:19]
	global_load_dwordx2 v[6:7], v33, s[6:7] offset:16
	s_mov_b64 s[20:21], exec
	v_mbcnt_lo_u32_b32 v8, s20, 0
	v_mbcnt_hi_u32_b32 v8, s21, v8
	v_cmp_eq_u32_e32 vcc, 0, v8
	s_and_saveexec_b64 s[18:19], vcc
	s_cbranch_execz .LBB3_502
; %bb.501:                              ;   in Loop: Header=BB3_433 Depth=1
	s_bcnt1_i32_b64 s20, s[20:21]
	v_mov_b32_e32 v32, s20
	buffer_wbl2
	s_waitcnt vmcnt(0)
	global_atomic_add_x2 v[6:7], v[32:33], off offset:8
.LBB3_502:                              ;   in Loop: Header=BB3_433 Depth=1
	s_or_b64 exec, exec, s[18:19]
	s_waitcnt vmcnt(0)
	global_load_dwordx2 v[8:9], v[6:7], off offset:16
	s_waitcnt vmcnt(0)
	v_cmp_eq_u64_e32 vcc, 0, v[8:9]
	s_cbranch_vccnz .LBB3_504
; %bb.503:                              ;   in Loop: Header=BB3_433 Depth=1
	global_load_dword v32, v[6:7], off offset:24
	s_waitcnt vmcnt(0)
	v_and_b32_e32 v6, 0xffffff, v32
	v_readfirstlane_b32 m0, v6
	buffer_wbl2
	global_store_dwordx2 v[8:9], v[32:33], off
	s_sendmsg sendmsg(MSG_INTERRUPT)
.LBB3_504:                              ;   in Loop: Header=BB3_433 Depth=1
	s_or_b64 exec, exec, s[16:17]
	v_add_co_u32_e32 v6, vcc, v30, v37
	v_addc_co_u32_e32 v7, vcc, 0, v1, vcc
	s_branch .LBB3_508
.LBB3_505:                              ;   in Loop: Header=BB3_508 Depth=2
	s_or_b64 exec, exec, s[16:17]
	v_readfirstlane_b32 s16, v1
	s_cmp_eq_u32 s16, 0
	s_cbranch_scc1 .LBB3_507
; %bb.506:                              ;   in Loop: Header=BB3_508 Depth=2
	s_sleep 1
	s_cbranch_execnz .LBB3_508
	s_branch .LBB3_510
.LBB3_507:                              ;   in Loop: Header=BB3_433 Depth=1
	s_branch .LBB3_510
.LBB3_508:                              ;   Parent Loop BB3_433 Depth=1
                                        ; =>  This Inner Loop Header: Depth=2
	v_mov_b32_e32 v1, 1
	s_and_saveexec_b64 s[16:17], s[2:3]
	s_cbranch_execz .LBB3_505
; %bb.509:                              ;   in Loop: Header=BB3_508 Depth=2
	global_load_dword v1, v[34:35], off offset:20 glc
	s_waitcnt vmcnt(0)
	buffer_invl2
	buffer_wbinvl1_vol
	v_and_b32_e32 v1, 1, v1
	s_branch .LBB3_505
.LBB3_510:                              ;   in Loop: Header=BB3_433 Depth=1
	global_load_dwordx4 v[6:9], v[6:7], off
	s_and_saveexec_b64 s[16:17], s[2:3]
	s_cbranch_execz .LBB3_432
; %bb.511:                              ;   in Loop: Header=BB3_433 Depth=1
	global_load_dwordx2 v[8:9], v33, s[6:7] offset:40
	global_load_dwordx2 v[16:17], v33, s[6:7] offset:24 glc
	global_load_dwordx2 v[18:19], v33, s[6:7]
	v_mov_b32_e32 v1, s15
	s_waitcnt vmcnt(2)
	v_add_co_u32_e32 v15, vcc, 1, v8
	v_addc_co_u32_e32 v20, vcc, 0, v9, vcc
	v_add_co_u32_e32 v12, vcc, s14, v15
	v_addc_co_u32_e32 v13, vcc, v20, v1, vcc
	v_cmp_eq_u64_e32 vcc, 0, v[12:13]
	v_cndmask_b32_e32 v13, v13, v20, vcc
	v_cndmask_b32_e32 v12, v12, v15, vcc
	v_and_b32_e32 v1, v13, v9
	v_and_b32_e32 v8, v12, v8
	v_mul_lo_u32 v1, v1, 24
	v_mul_hi_u32 v9, v8, 24
	v_mul_lo_u32 v8, v8, 24
	v_add_u32_e32 v1, v9, v1
	s_waitcnt vmcnt(0)
	v_add_co_u32_e32 v8, vcc, v18, v8
	v_addc_co_u32_e32 v9, vcc, v19, v1, vcc
	v_mov_b32_e32 v14, v16
	global_store_dwordx2 v[8:9], v[16:17], off
	v_mov_b32_e32 v15, v17
	buffer_wbl2
	s_waitcnt vmcnt(0)
	global_atomic_cmpswap_x2 v[14:15], v33, v[12:15], s[6:7] offset:24 glc
	s_waitcnt vmcnt(0)
	v_cmp_ne_u64_e32 vcc, v[14:15], v[16:17]
	s_and_b64 exec, exec, vcc
	s_cbranch_execz .LBB3_432
; %bb.512:                              ;   in Loop: Header=BB3_433 Depth=1
	s_mov_b64 s[2:3], 0
.LBB3_513:                              ;   Parent Loop BB3_433 Depth=1
                                        ; =>  This Inner Loop Header: Depth=2
	s_sleep 1
	global_store_dwordx2 v[8:9], v[14:15], off
	buffer_wbl2
	s_waitcnt vmcnt(0)
	global_atomic_cmpswap_x2 v[16:17], v33, v[12:15], s[6:7] offset:24 glc
	s_waitcnt vmcnt(0)
	v_cmp_eq_u64_e32 vcc, v[16:17], v[14:15]
	s_or_b64 s[2:3], vcc, s[2:3]
	v_pk_mov_b32 v[14:15], v[16:17], v[16:17] op_sel:[0,1]
	s_andn2_b64 exec, exec, s[2:3]
	s_cbranch_execnz .LBB3_513
	s_branch .LBB3_432
.LBB3_514:
	s_branch .LBB3_542
.LBB3_515:
                                        ; implicit-def: $vgpr6_vgpr7
	s_cbranch_execz .LBB3_542
; %bb.516:
	v_readfirstlane_b32 s2, v38
	v_cmp_eq_u32_e64 s[2:3], s2, v38
	v_pk_mov_b32 v[0:1], 0, 0
	s_and_saveexec_b64 s[8:9], s[2:3]
	s_cbranch_execz .LBB3_522
; %bb.517:
	s_waitcnt vmcnt(0)
	v_mov_b32_e32 v6, 0
	global_load_dwordx2 v[10:11], v6, s[6:7] offset:24 glc
	s_waitcnt vmcnt(0)
	buffer_invl2
	buffer_wbinvl1_vol
	global_load_dwordx2 v[0:1], v6, s[6:7] offset:40
	global_load_dwordx2 v[8:9], v6, s[6:7]
	s_waitcnt vmcnt(1)
	v_and_b32_e32 v0, v0, v10
	v_and_b32_e32 v1, v1, v11
	v_mul_lo_u32 v1, v1, 24
	v_mul_hi_u32 v7, v0, 24
	v_mul_lo_u32 v0, v0, 24
	v_add_u32_e32 v1, v7, v1
	s_waitcnt vmcnt(0)
	v_add_co_u32_e32 v0, vcc, v8, v0
	v_addc_co_u32_e32 v1, vcc, v9, v1, vcc
	global_load_dwordx2 v[8:9], v[0:1], off glc
	s_waitcnt vmcnt(0)
	global_atomic_cmpswap_x2 v[0:1], v6, v[8:11], s[6:7] offset:24 glc
	s_waitcnt vmcnt(0)
	buffer_invl2
	buffer_wbinvl1_vol
	v_cmp_ne_u64_e32 vcc, v[0:1], v[10:11]
	s_and_saveexec_b64 s[10:11], vcc
	s_cbranch_execz .LBB3_521
; %bb.518:
	s_mov_b64 s[12:13], 0
.LBB3_519:                              ; =>This Inner Loop Header: Depth=1
	s_sleep 1
	global_load_dwordx2 v[8:9], v6, s[6:7] offset:40
	global_load_dwordx2 v[12:13], v6, s[6:7]
	v_pk_mov_b32 v[10:11], v[0:1], v[0:1] op_sel:[0,1]
	s_waitcnt vmcnt(1)
	v_and_b32_e32 v0, v8, v10
	s_waitcnt vmcnt(0)
	v_mad_u64_u32 v[0:1], s[14:15], v0, 24, v[12:13]
	v_and_b32_e32 v7, v9, v11
	v_mov_b32_e32 v8, v1
	v_mad_u64_u32 v[8:9], s[14:15], v7, 24, v[8:9]
	v_mov_b32_e32 v1, v8
	global_load_dwordx2 v[8:9], v[0:1], off glc
	s_waitcnt vmcnt(0)
	global_atomic_cmpswap_x2 v[0:1], v6, v[8:11], s[6:7] offset:24 glc
	s_waitcnt vmcnt(0)
	buffer_invl2
	buffer_wbinvl1_vol
	v_cmp_eq_u64_e32 vcc, v[0:1], v[10:11]
	s_or_b64 s[12:13], vcc, s[12:13]
	s_andn2_b64 exec, exec, s[12:13]
	s_cbranch_execnz .LBB3_519
; %bb.520:
	s_or_b64 exec, exec, s[12:13]
.LBB3_521:
	s_or_b64 exec, exec, s[10:11]
.LBB3_522:
	s_or_b64 exec, exec, s[8:9]
	s_waitcnt vmcnt(0)
	v_mov_b32_e32 v6, 0
	global_load_dwordx2 v[12:13], v6, s[6:7] offset:40
	global_load_dwordx4 v[8:11], v6, s[6:7]
	v_readfirstlane_b32 s8, v0
	v_readfirstlane_b32 s9, v1
	s_mov_b64 s[10:11], exec
	s_waitcnt vmcnt(1)
	v_readfirstlane_b32 s12, v12
	v_readfirstlane_b32 s13, v13
	s_and_b64 s[12:13], s[8:9], s[12:13]
	s_mul_i32 s14, s13, 24
	s_mul_hi_u32 s15, s12, 24
	s_mul_i32 s16, s12, 24
	s_add_i32 s14, s15, s14
	v_mov_b32_e32 v1, s14
	s_waitcnt vmcnt(0)
	v_add_co_u32_e32 v0, vcc, s16, v8
	v_addc_co_u32_e32 v1, vcc, v9, v1, vcc
	s_and_saveexec_b64 s[14:15], s[2:3]
	s_cbranch_execz .LBB3_524
; %bb.523:
	v_pk_mov_b32 v[12:13], s[10:11], s[10:11] op_sel:[0,1]
	v_mov_b32_e32 v14, 2
	v_mov_b32_e32 v15, 1
	global_store_dwordx4 v[0:1], v[12:15], off offset:8
.LBB3_524:
	s_or_b64 exec, exec, s[14:15]
	s_lshl_b64 s[10:11], s[12:13], 12
	v_mov_b32_e32 v7, s11
	v_add_co_u32_e32 v12, vcc, s10, v10
	v_addc_co_u32_e32 v13, vcc, v11, v7, vcc
	s_movk_i32 s10, 0xff1f
	s_mov_b32 s12, 0
	v_and_or_b32 v4, v4, s10, 32
	v_mov_b32_e32 v7, v6
	v_readfirstlane_b32 s10, v12
	v_readfirstlane_b32 s11, v13
	s_mov_b32 s13, s12
	v_add_co_u32_e32 v10, vcc, v12, v37
	s_mov_b32 s14, s12
	s_mov_b32 s15, s12
	s_nop 0
	global_store_dwordx4 v37, v[4:7], s[10:11]
	v_addc_co_u32_e32 v11, vcc, 0, v13, vcc
	v_pk_mov_b32 v[4:5], s[12:13], s[12:13] op_sel:[0,1]
	v_pk_mov_b32 v[6:7], s[14:15], s[14:15] op_sel:[0,1]
	global_store_dwordx4 v37, v[4:7], s[10:11] offset:16
	global_store_dwordx4 v37, v[4:7], s[10:11] offset:32
	;; [unrolled: 1-line block ×3, first 2 shown]
	s_and_saveexec_b64 s[10:11], s[2:3]
	s_cbranch_execz .LBB3_532
; %bb.525:
	v_mov_b32_e32 v12, 0
	global_load_dwordx2 v[16:17], v12, s[6:7] offset:32 glc
	global_load_dwordx2 v[4:5], v12, s[6:7] offset:40
	v_mov_b32_e32 v14, s8
	v_mov_b32_e32 v15, s9
	s_waitcnt vmcnt(0)
	v_readfirstlane_b32 s12, v4
	v_readfirstlane_b32 s13, v5
	s_and_b64 s[12:13], s[12:13], s[8:9]
	s_mul_i32 s13, s13, 24
	s_mul_hi_u32 s14, s12, 24
	s_mul_i32 s12, s12, 24
	s_add_i32 s13, s14, s13
	v_mov_b32_e32 v4, s13
	v_add_co_u32_e32 v8, vcc, s12, v8
	v_addc_co_u32_e32 v9, vcc, v9, v4, vcc
	global_store_dwordx2 v[8:9], v[16:17], off
	buffer_wbl2
	s_waitcnt vmcnt(0)
	global_atomic_cmpswap_x2 v[6:7], v12, v[14:17], s[6:7] offset:32 glc
	s_waitcnt vmcnt(0)
	v_cmp_ne_u64_e32 vcc, v[6:7], v[16:17]
	s_and_saveexec_b64 s[12:13], vcc
	s_cbranch_execz .LBB3_528
; %bb.526:
	s_mov_b64 s[14:15], 0
.LBB3_527:                              ; =>This Inner Loop Header: Depth=1
	s_sleep 1
	global_store_dwordx2 v[8:9], v[6:7], off
	v_mov_b32_e32 v4, s8
	v_mov_b32_e32 v5, s9
	buffer_wbl2
	s_waitcnt vmcnt(0)
	global_atomic_cmpswap_x2 v[4:5], v12, v[4:7], s[6:7] offset:32 glc
	s_waitcnt vmcnt(0)
	v_cmp_eq_u64_e32 vcc, v[4:5], v[6:7]
	s_or_b64 s[14:15], vcc, s[14:15]
	v_pk_mov_b32 v[6:7], v[4:5], v[4:5] op_sel:[0,1]
	s_andn2_b64 exec, exec, s[14:15]
	s_cbranch_execnz .LBB3_527
.LBB3_528:
	s_or_b64 exec, exec, s[12:13]
	v_mov_b32_e32 v7, 0
	global_load_dwordx2 v[4:5], v7, s[6:7] offset:16
	s_mov_b64 s[12:13], exec
	v_mbcnt_lo_u32_b32 v6, s12, 0
	v_mbcnt_hi_u32_b32 v6, s13, v6
	v_cmp_eq_u32_e32 vcc, 0, v6
	s_and_saveexec_b64 s[14:15], vcc
	s_cbranch_execz .LBB3_530
; %bb.529:
	s_bcnt1_i32_b64 s12, s[12:13]
	v_mov_b32_e32 v6, s12
	buffer_wbl2
	s_waitcnt vmcnt(0)
	global_atomic_add_x2 v[4:5], v[6:7], off offset:8
.LBB3_530:
	s_or_b64 exec, exec, s[14:15]
	s_waitcnt vmcnt(0)
	global_load_dwordx2 v[6:7], v[4:5], off offset:16
	s_waitcnt vmcnt(0)
	v_cmp_eq_u64_e32 vcc, 0, v[6:7]
	s_cbranch_vccnz .LBB3_532
; %bb.531:
	global_load_dword v4, v[4:5], off offset:24
	v_mov_b32_e32 v5, 0
	buffer_wbl2
	s_waitcnt vmcnt(0)
	global_store_dwordx2 v[6:7], v[4:5], off
	v_and_b32_e32 v4, 0xffffff, v4
	v_readfirstlane_b32 m0, v4
	s_sendmsg sendmsg(MSG_INTERRUPT)
.LBB3_532:
	s_or_b64 exec, exec, s[10:11]
	s_branch .LBB3_536
.LBB3_533:                              ;   in Loop: Header=BB3_536 Depth=1
	s_or_b64 exec, exec, s[10:11]
	v_readfirstlane_b32 s10, v4
	s_cmp_eq_u32 s10, 0
	s_cbranch_scc1 .LBB3_535
; %bb.534:                              ;   in Loop: Header=BB3_536 Depth=1
	s_sleep 1
	s_cbranch_execnz .LBB3_536
	s_branch .LBB3_538
.LBB3_535:
	s_branch .LBB3_538
.LBB3_536:                              ; =>This Inner Loop Header: Depth=1
	v_mov_b32_e32 v4, 1
	s_and_saveexec_b64 s[10:11], s[2:3]
	s_cbranch_execz .LBB3_533
; %bb.537:                              ;   in Loop: Header=BB3_536 Depth=1
	global_load_dword v4, v[0:1], off offset:20 glc
	s_waitcnt vmcnt(0)
	buffer_invl2
	buffer_wbinvl1_vol
	v_and_b32_e32 v4, 1, v4
	s_branch .LBB3_533
.LBB3_538:
	global_load_dwordx2 v[6:7], v[10:11], off
	s_and_saveexec_b64 s[10:11], s[2:3]
	s_cbranch_execz .LBB3_541
; %bb.539:
	v_mov_b32_e32 v4, 0
	global_load_dwordx2 v[0:1], v4, s[6:7] offset:40
	global_load_dwordx2 v[12:13], v4, s[6:7] offset:24 glc
	global_load_dwordx2 v[14:15], v4, s[6:7]
	v_mov_b32_e32 v5, s9
	s_mov_b64 s[2:3], 0
	s_waitcnt vmcnt(2)
	v_add_co_u32_e32 v11, vcc, 1, v0
	v_addc_co_u32_e32 v16, vcc, 0, v1, vcc
	v_add_co_u32_e32 v8, vcc, s8, v11
	v_addc_co_u32_e32 v9, vcc, v16, v5, vcc
	v_cmp_eq_u64_e32 vcc, 0, v[8:9]
	v_cndmask_b32_e32 v9, v9, v16, vcc
	v_cndmask_b32_e32 v8, v8, v11, vcc
	v_and_b32_e32 v1, v9, v1
	v_and_b32_e32 v0, v8, v0
	v_mul_lo_u32 v1, v1, 24
	v_mul_hi_u32 v5, v0, 24
	v_mul_lo_u32 v0, v0, 24
	v_add_u32_e32 v1, v5, v1
	s_waitcnt vmcnt(0)
	v_add_co_u32_e32 v0, vcc, v14, v0
	v_addc_co_u32_e32 v1, vcc, v15, v1, vcc
	v_mov_b32_e32 v10, v12
	global_store_dwordx2 v[0:1], v[12:13], off
	v_mov_b32_e32 v11, v13
	buffer_wbl2
	s_waitcnt vmcnt(0)
	global_atomic_cmpswap_x2 v[10:11], v4, v[8:11], s[6:7] offset:24 glc
	s_waitcnt vmcnt(0)
	v_cmp_ne_u64_e32 vcc, v[10:11], v[12:13]
	s_and_b64 exec, exec, vcc
	s_cbranch_execz .LBB3_541
.LBB3_540:                              ; =>This Inner Loop Header: Depth=1
	s_sleep 1
	global_store_dwordx2 v[0:1], v[10:11], off
	buffer_wbl2
	s_waitcnt vmcnt(0)
	global_atomic_cmpswap_x2 v[12:13], v4, v[8:11], s[6:7] offset:24 glc
	s_waitcnt vmcnt(0)
	v_cmp_eq_u64_e32 vcc, v[12:13], v[10:11]
	s_or_b64 s[2:3], vcc, s[2:3]
	v_pk_mov_b32 v[10:11], v[12:13], v[12:13] op_sel:[0,1]
	s_andn2_b64 exec, exec, s[2:3]
	s_cbranch_execnz .LBB3_540
.LBB3_541:
	s_or_b64 exec, exec, s[10:11]
.LBB3_542:
	v_readfirstlane_b32 s2, v38
	v_cmp_eq_u32_e64 s[2:3], s2, v38
	v_pk_mov_b32 v[0:1], 0, 0
	s_and_saveexec_b64 s[8:9], s[2:3]
	s_cbranch_execz .LBB3_548
; %bb.543:
	s_waitcnt vmcnt(0)
	v_mov_b32_e32 v4, 0
	global_load_dwordx2 v[10:11], v4, s[6:7] offset:24 glc
	s_waitcnt vmcnt(0)
	buffer_invl2
	buffer_wbinvl1_vol
	global_load_dwordx2 v[0:1], v4, s[6:7] offset:40
	global_load_dwordx2 v[8:9], v4, s[6:7]
	s_waitcnt vmcnt(1)
	v_and_b32_e32 v0, v0, v10
	v_and_b32_e32 v1, v1, v11
	v_mul_lo_u32 v1, v1, 24
	v_mul_hi_u32 v5, v0, 24
	v_mul_lo_u32 v0, v0, 24
	v_add_u32_e32 v1, v5, v1
	s_waitcnt vmcnt(0)
	v_add_co_u32_e32 v0, vcc, v8, v0
	v_addc_co_u32_e32 v1, vcc, v9, v1, vcc
	global_load_dwordx2 v[8:9], v[0:1], off glc
	s_waitcnt vmcnt(0)
	global_atomic_cmpswap_x2 v[0:1], v4, v[8:11], s[6:7] offset:24 glc
	s_waitcnt vmcnt(0)
	buffer_invl2
	buffer_wbinvl1_vol
	v_cmp_ne_u64_e32 vcc, v[0:1], v[10:11]
	s_and_saveexec_b64 s[10:11], vcc
	s_cbranch_execz .LBB3_547
; %bb.544:
	s_mov_b64 s[12:13], 0
.LBB3_545:                              ; =>This Inner Loop Header: Depth=1
	s_sleep 1
	global_load_dwordx2 v[8:9], v4, s[6:7] offset:40
	global_load_dwordx2 v[12:13], v4, s[6:7]
	v_pk_mov_b32 v[10:11], v[0:1], v[0:1] op_sel:[0,1]
	s_waitcnt vmcnt(1)
	v_and_b32_e32 v0, v8, v10
	s_waitcnt vmcnt(0)
	v_mad_u64_u32 v[0:1], s[14:15], v0, 24, v[12:13]
	v_and_b32_e32 v5, v9, v11
	v_mov_b32_e32 v8, v1
	v_mad_u64_u32 v[8:9], s[14:15], v5, 24, v[8:9]
	v_mov_b32_e32 v1, v8
	global_load_dwordx2 v[8:9], v[0:1], off glc
	s_waitcnt vmcnt(0)
	global_atomic_cmpswap_x2 v[0:1], v4, v[8:11], s[6:7] offset:24 glc
	s_waitcnt vmcnt(0)
	buffer_invl2
	buffer_wbinvl1_vol
	v_cmp_eq_u64_e32 vcc, v[0:1], v[10:11]
	s_or_b64 s[12:13], vcc, s[12:13]
	s_andn2_b64 exec, exec, s[12:13]
	s_cbranch_execnz .LBB3_545
; %bb.546:
	s_or_b64 exec, exec, s[12:13]
.LBB3_547:
	s_or_b64 exec, exec, s[10:11]
.LBB3_548:
	s_or_b64 exec, exec, s[8:9]
	s_waitcnt vmcnt(0)
	v_mov_b32_e32 v9, 0
	global_load_dwordx2 v[4:5], v9, s[6:7] offset:40
	global_load_dwordx4 v[10:13], v9, s[6:7]
	v_readfirstlane_b32 s8, v0
	v_readfirstlane_b32 s9, v1
	s_mov_b64 s[10:11], exec
	s_waitcnt vmcnt(1)
	v_readfirstlane_b32 s12, v4
	v_readfirstlane_b32 s13, v5
	s_and_b64 s[12:13], s[8:9], s[12:13]
	s_mul_i32 s14, s13, 24
	s_mul_hi_u32 s15, s12, 24
	s_mul_i32 s16, s12, 24
	s_add_i32 s14, s15, s14
	v_mov_b32_e32 v1, s14
	s_waitcnt vmcnt(0)
	v_add_co_u32_e32 v0, vcc, s16, v10
	v_addc_co_u32_e32 v1, vcc, v11, v1, vcc
	s_and_saveexec_b64 s[14:15], s[2:3]
	s_cbranch_execz .LBB3_550
; %bb.549:
	v_pk_mov_b32 v[14:15], s[10:11], s[10:11] op_sel:[0,1]
	v_mov_b32_e32 v16, 2
	v_mov_b32_e32 v17, 1
	global_store_dwordx4 v[0:1], v[14:17], off offset:8
.LBB3_550:
	s_or_b64 exec, exec, s[14:15]
	s_lshl_b64 s[10:11], s[12:13], 12
	v_mov_b32_e32 v5, s11
	v_add_co_u32_e32 v4, vcc, s10, v12
	v_addc_co_u32_e32 v5, vcc, v13, v5, vcc
	s_mov_b32 s12, 0
	s_movk_i32 s10, 0xff1f
	v_add_u32_e32 v8, -1, v39
	v_and_or_b32 v6, v6, s10, 32
	v_add_co_u32_e32 v12, vcc, v4, v37
	v_readfirstlane_b32 s10, v4
	v_readfirstlane_b32 s11, v5
	s_mov_b32 s13, s12
	v_addc_co_u32_e32 v13, vcc, 0, v5, vcc
	s_mov_b32 s14, s12
	s_mov_b32 s15, s12
	s_nop 0
	global_store_dwordx4 v37, v[6:9], s[10:11]
	v_pk_mov_b32 v[4:5], s[12:13], s[12:13] op_sel:[0,1]
	v_pk_mov_b32 v[6:7], s[14:15], s[14:15] op_sel:[0,1]
	global_store_dwordx4 v37, v[4:7], s[10:11] offset:16
	global_store_dwordx4 v37, v[4:7], s[10:11] offset:32
	;; [unrolled: 1-line block ×3, first 2 shown]
	s_and_saveexec_b64 s[10:11], s[2:3]
	s_cbranch_execz .LBB3_558
; %bb.551:
	v_mov_b32_e32 v14, 0
	global_load_dwordx2 v[18:19], v14, s[6:7] offset:32 glc
	global_load_dwordx2 v[4:5], v14, s[6:7] offset:40
	v_mov_b32_e32 v16, s8
	v_mov_b32_e32 v17, s9
	s_waitcnt vmcnt(0)
	v_readfirstlane_b32 s12, v4
	v_readfirstlane_b32 s13, v5
	s_and_b64 s[12:13], s[12:13], s[8:9]
	s_mul_i32 s13, s13, 24
	s_mul_hi_u32 s14, s12, 24
	s_mul_i32 s12, s12, 24
	s_add_i32 s13, s14, s13
	v_mov_b32_e32 v4, s13
	v_add_co_u32_e32 v8, vcc, s12, v10
	v_addc_co_u32_e32 v9, vcc, v11, v4, vcc
	global_store_dwordx2 v[8:9], v[18:19], off
	buffer_wbl2
	s_waitcnt vmcnt(0)
	global_atomic_cmpswap_x2 v[6:7], v14, v[16:19], s[6:7] offset:32 glc
	s_waitcnt vmcnt(0)
	v_cmp_ne_u64_e32 vcc, v[6:7], v[18:19]
	s_and_saveexec_b64 s[12:13], vcc
	s_cbranch_execz .LBB3_554
; %bb.552:
	s_mov_b64 s[14:15], 0
.LBB3_553:                              ; =>This Inner Loop Header: Depth=1
	s_sleep 1
	global_store_dwordx2 v[8:9], v[6:7], off
	v_mov_b32_e32 v4, s8
	v_mov_b32_e32 v5, s9
	buffer_wbl2
	s_waitcnt vmcnt(0)
	global_atomic_cmpswap_x2 v[4:5], v14, v[4:7], s[6:7] offset:32 glc
	s_waitcnt vmcnt(0)
	v_cmp_eq_u64_e32 vcc, v[4:5], v[6:7]
	s_or_b64 s[14:15], vcc, s[14:15]
	v_pk_mov_b32 v[6:7], v[4:5], v[4:5] op_sel:[0,1]
	s_andn2_b64 exec, exec, s[14:15]
	s_cbranch_execnz .LBB3_553
.LBB3_554:
	s_or_b64 exec, exec, s[12:13]
	v_mov_b32_e32 v7, 0
	global_load_dwordx2 v[4:5], v7, s[6:7] offset:16
	s_mov_b64 s[12:13], exec
	v_mbcnt_lo_u32_b32 v6, s12, 0
	v_mbcnt_hi_u32_b32 v6, s13, v6
	v_cmp_eq_u32_e32 vcc, 0, v6
	s_and_saveexec_b64 s[14:15], vcc
	s_cbranch_execz .LBB3_556
; %bb.555:
	s_bcnt1_i32_b64 s12, s[12:13]
	v_mov_b32_e32 v6, s12
	buffer_wbl2
	s_waitcnt vmcnt(0)
	global_atomic_add_x2 v[4:5], v[6:7], off offset:8
.LBB3_556:
	s_or_b64 exec, exec, s[14:15]
	s_waitcnt vmcnt(0)
	global_load_dwordx2 v[6:7], v[4:5], off offset:16
	s_waitcnt vmcnt(0)
	v_cmp_eq_u64_e32 vcc, 0, v[6:7]
	s_cbranch_vccnz .LBB3_558
; %bb.557:
	global_load_dword v4, v[4:5], off offset:24
	v_mov_b32_e32 v5, 0
	buffer_wbl2
	s_waitcnt vmcnt(0)
	global_store_dwordx2 v[6:7], v[4:5], off
	v_and_b32_e32 v4, 0xffffff, v4
	v_readfirstlane_b32 m0, v4
	s_sendmsg sendmsg(MSG_INTERRUPT)
.LBB3_558:
	s_or_b64 exec, exec, s[10:11]
	s_branch .LBB3_562
.LBB3_559:                              ;   in Loop: Header=BB3_562 Depth=1
	s_or_b64 exec, exec, s[10:11]
	v_readfirstlane_b32 s10, v4
	s_cmp_eq_u32 s10, 0
	s_cbranch_scc1 .LBB3_561
; %bb.560:                              ;   in Loop: Header=BB3_562 Depth=1
	s_sleep 1
	s_cbranch_execnz .LBB3_562
	s_branch .LBB3_564
.LBB3_561:
	s_branch .LBB3_564
.LBB3_562:                              ; =>This Inner Loop Header: Depth=1
	v_mov_b32_e32 v4, 1
	s_and_saveexec_b64 s[10:11], s[2:3]
	s_cbranch_execz .LBB3_559
; %bb.563:                              ;   in Loop: Header=BB3_562 Depth=1
	global_load_dword v4, v[0:1], off offset:20 glc
	s_waitcnt vmcnt(0)
	buffer_invl2
	buffer_wbinvl1_vol
	v_and_b32_e32 v4, 1, v4
	s_branch .LBB3_559
.LBB3_564:
	global_load_dwordx2 v[4:5], v[12:13], off
	s_and_saveexec_b64 s[10:11], s[2:3]
	s_cbranch_execz .LBB3_567
; %bb.565:
	v_mov_b32_e32 v10, 0
	global_load_dwordx2 v[0:1], v10, s[6:7] offset:40
	global_load_dwordx2 v[12:13], v10, s[6:7] offset:24 glc
	global_load_dwordx2 v[14:15], v10, s[6:7]
	v_mov_b32_e32 v7, s9
	s_mov_b64 s[2:3], 0
	s_waitcnt vmcnt(2)
	v_add_co_u32_e32 v9, vcc, 1, v0
	v_addc_co_u32_e32 v11, vcc, 0, v1, vcc
	v_add_co_u32_e32 v6, vcc, s8, v9
	v_addc_co_u32_e32 v7, vcc, v11, v7, vcc
	v_cmp_eq_u64_e32 vcc, 0, v[6:7]
	v_cndmask_b32_e32 v7, v7, v11, vcc
	v_cndmask_b32_e32 v6, v6, v9, vcc
	v_and_b32_e32 v1, v7, v1
	v_and_b32_e32 v0, v6, v0
	v_mul_lo_u32 v1, v1, 24
	v_mul_hi_u32 v9, v0, 24
	v_mul_lo_u32 v0, v0, 24
	v_add_u32_e32 v1, v9, v1
	s_waitcnt vmcnt(0)
	v_add_co_u32_e32 v0, vcc, v14, v0
	v_addc_co_u32_e32 v1, vcc, v15, v1, vcc
	v_mov_b32_e32 v8, v12
	global_store_dwordx2 v[0:1], v[12:13], off
	v_mov_b32_e32 v9, v13
	buffer_wbl2
	s_waitcnt vmcnt(0)
	global_atomic_cmpswap_x2 v[8:9], v10, v[6:9], s[6:7] offset:24 glc
	s_waitcnt vmcnt(0)
	v_cmp_ne_u64_e32 vcc, v[8:9], v[12:13]
	s_and_b64 exec, exec, vcc
	s_cbranch_execz .LBB3_567
.LBB3_566:                              ; =>This Inner Loop Header: Depth=1
	s_sleep 1
	global_store_dwordx2 v[0:1], v[8:9], off
	buffer_wbl2
	s_waitcnt vmcnt(0)
	global_atomic_cmpswap_x2 v[12:13], v10, v[6:9], s[6:7] offset:24 glc
	s_waitcnt vmcnt(0)
	v_cmp_eq_u64_e32 vcc, v[12:13], v[8:9]
	s_or_b64 s[2:3], vcc, s[2:3]
	v_pk_mov_b32 v[8:9], v[12:13], v[12:13] op_sel:[0,1]
	s_andn2_b64 exec, exec, s[2:3]
	s_cbranch_execnz .LBB3_566
.LBB3_567:
	s_or_b64 exec, exec, s[10:11]
	v_readfirstlane_b32 s2, v38
	v_cmp_eq_u32_e64 s[2:3], s2, v38
	v_pk_mov_b32 v[0:1], 0, 0
	s_and_saveexec_b64 s[8:9], s[2:3]
	s_cbranch_execz .LBB3_573
; %bb.568:
	v_mov_b32_e32 v6, 0
	global_load_dwordx2 v[10:11], v6, s[6:7] offset:24 glc
	s_waitcnt vmcnt(0)
	buffer_invl2
	buffer_wbinvl1_vol
	global_load_dwordx2 v[0:1], v6, s[6:7] offset:40
	global_load_dwordx2 v[8:9], v6, s[6:7]
	s_waitcnt vmcnt(1)
	v_and_b32_e32 v0, v0, v10
	v_and_b32_e32 v1, v1, v11
	v_mul_lo_u32 v1, v1, 24
	v_mul_hi_u32 v7, v0, 24
	v_mul_lo_u32 v0, v0, 24
	v_add_u32_e32 v1, v7, v1
	s_waitcnt vmcnt(0)
	v_add_co_u32_e32 v0, vcc, v8, v0
	v_addc_co_u32_e32 v1, vcc, v9, v1, vcc
	global_load_dwordx2 v[8:9], v[0:1], off glc
	s_waitcnt vmcnt(0)
	global_atomic_cmpswap_x2 v[0:1], v6, v[8:11], s[6:7] offset:24 glc
	s_waitcnt vmcnt(0)
	buffer_invl2
	buffer_wbinvl1_vol
	v_cmp_ne_u64_e32 vcc, v[0:1], v[10:11]
	s_and_saveexec_b64 s[10:11], vcc
	s_cbranch_execz .LBB3_572
; %bb.569:
	s_mov_b64 s[12:13], 0
.LBB3_570:                              ; =>This Inner Loop Header: Depth=1
	s_sleep 1
	global_load_dwordx2 v[8:9], v6, s[6:7] offset:40
	global_load_dwordx2 v[12:13], v6, s[6:7]
	v_pk_mov_b32 v[10:11], v[0:1], v[0:1] op_sel:[0,1]
	s_waitcnt vmcnt(1)
	v_and_b32_e32 v0, v8, v10
	s_waitcnt vmcnt(0)
	v_mad_u64_u32 v[0:1], s[14:15], v0, 24, v[12:13]
	v_and_b32_e32 v7, v9, v11
	v_mov_b32_e32 v8, v1
	v_mad_u64_u32 v[8:9], s[14:15], v7, 24, v[8:9]
	v_mov_b32_e32 v1, v8
	global_load_dwordx2 v[8:9], v[0:1], off glc
	s_waitcnt vmcnt(0)
	global_atomic_cmpswap_x2 v[0:1], v6, v[8:11], s[6:7] offset:24 glc
	s_waitcnt vmcnt(0)
	buffer_invl2
	buffer_wbinvl1_vol
	v_cmp_eq_u64_e32 vcc, v[0:1], v[10:11]
	s_or_b64 s[12:13], vcc, s[12:13]
	s_andn2_b64 exec, exec, s[12:13]
	s_cbranch_execnz .LBB3_570
; %bb.571:
	s_or_b64 exec, exec, s[12:13]
.LBB3_572:
	s_or_b64 exec, exec, s[10:11]
.LBB3_573:
	s_or_b64 exec, exec, s[8:9]
	v_mov_b32_e32 v7, 0
	global_load_dwordx2 v[12:13], v7, s[6:7] offset:40
	global_load_dwordx4 v[8:11], v7, s[6:7]
	v_readfirstlane_b32 s8, v0
	v_readfirstlane_b32 s9, v1
	s_mov_b64 s[10:11], exec
	s_waitcnt vmcnt(1)
	v_readfirstlane_b32 s12, v12
	v_readfirstlane_b32 s13, v13
	s_and_b64 s[12:13], s[8:9], s[12:13]
	s_mul_i32 s14, s13, 24
	s_mul_hi_u32 s15, s12, 24
	s_mul_i32 s16, s12, 24
	s_add_i32 s14, s15, s14
	v_mov_b32_e32 v1, s14
	s_waitcnt vmcnt(0)
	v_add_co_u32_e32 v0, vcc, s16, v8
	v_addc_co_u32_e32 v1, vcc, v9, v1, vcc
	s_and_saveexec_b64 s[14:15], s[2:3]
	s_cbranch_execz .LBB3_575
; %bb.574:
	v_pk_mov_b32 v[12:13], s[10:11], s[10:11] op_sel:[0,1]
	v_mov_b32_e32 v14, 2
	v_mov_b32_e32 v15, 1
	global_store_dwordx4 v[0:1], v[12:15], off offset:8
.LBB3_575:
	s_or_b64 exec, exec, s[14:15]
	s_lshl_b64 s[10:11], s[12:13], 12
	v_mov_b32_e32 v6, s11
	v_add_co_u32_e32 v10, vcc, s10, v10
	s_mov_b32 s12, 0
	v_addc_co_u32_e32 v11, vcc, v11, v6, vcc
	s_mov_b32 s14, s12
	s_mov_b32 s15, s12
	v_cndmask_b32_e64 v6, -1, v3, s[0:1]
	s_movk_i32 s0, 0xff1f
	v_add_co_u32_e32 v12, vcc, v10, v37
	s_mov_b32 s13, s12
	v_pk_mov_b32 v[16:17], s[14:15], s[14:15] op_sel:[0,1]
	v_and_or_b32 v4, v4, s0, 32
	v_addc_co_u32_e32 v13, vcc, 0, v11, vcc
	v_readfirstlane_b32 s0, v10
	v_readfirstlane_b32 s1, v11
	v_pk_mov_b32 v[14:15], s[12:13], s[12:13] op_sel:[0,1]
	s_nop 3
	global_store_dwordx4 v37, v[4:7], s[0:1]
	global_store_dwordx4 v37, v[14:17], s[0:1] offset:16
	global_store_dwordx4 v37, v[14:17], s[0:1] offset:32
	;; [unrolled: 1-line block ×3, first 2 shown]
	s_and_saveexec_b64 s[0:1], s[2:3]
	s_cbranch_execz .LBB3_583
; %bb.576:
	v_mov_b32_e32 v3, 0
	global_load_dwordx2 v[16:17], v3, s[6:7] offset:32 glc
	global_load_dwordx2 v[4:5], v3, s[6:7] offset:40
	v_mov_b32_e32 v14, s8
	v_mov_b32_e32 v15, s9
	s_waitcnt vmcnt(0)
	v_readfirstlane_b32 s10, v4
	v_readfirstlane_b32 s11, v5
	s_and_b64 s[10:11], s[10:11], s[8:9]
	s_mul_i32 s11, s11, 24
	s_mul_hi_u32 s12, s10, 24
	s_mul_i32 s10, s10, 24
	s_add_i32 s11, s12, s11
	v_mov_b32_e32 v5, s11
	v_add_co_u32_e32 v4, vcc, s10, v8
	v_addc_co_u32_e32 v5, vcc, v9, v5, vcc
	global_store_dwordx2 v[4:5], v[16:17], off
	buffer_wbl2
	s_waitcnt vmcnt(0)
	global_atomic_cmpswap_x2 v[10:11], v3, v[14:17], s[6:7] offset:32 glc
	s_waitcnt vmcnt(0)
	v_cmp_ne_u64_e32 vcc, v[10:11], v[16:17]
	s_and_saveexec_b64 s[10:11], vcc
	s_cbranch_execz .LBB3_579
; %bb.577:
	s_mov_b64 s[12:13], 0
.LBB3_578:                              ; =>This Inner Loop Header: Depth=1
	s_sleep 1
	global_store_dwordx2 v[4:5], v[10:11], off
	v_mov_b32_e32 v8, s8
	v_mov_b32_e32 v9, s9
	buffer_wbl2
	s_waitcnt vmcnt(0)
	global_atomic_cmpswap_x2 v[8:9], v3, v[8:11], s[6:7] offset:32 glc
	s_waitcnt vmcnt(0)
	v_cmp_eq_u64_e32 vcc, v[8:9], v[10:11]
	s_or_b64 s[12:13], vcc, s[12:13]
	v_pk_mov_b32 v[10:11], v[8:9], v[8:9] op_sel:[0,1]
	s_andn2_b64 exec, exec, s[12:13]
	s_cbranch_execnz .LBB3_578
.LBB3_579:
	s_or_b64 exec, exec, s[10:11]
	v_mov_b32_e32 v9, 0
	global_load_dwordx2 v[4:5], v9, s[6:7] offset:16
	s_mov_b64 s[10:11], exec
	v_mbcnt_lo_u32_b32 v3, s10, 0
	v_mbcnt_hi_u32_b32 v3, s11, v3
	v_cmp_eq_u32_e32 vcc, 0, v3
	s_and_saveexec_b64 s[12:13], vcc
	s_cbranch_execz .LBB3_581
; %bb.580:
	s_bcnt1_i32_b64 s10, s[10:11]
	v_mov_b32_e32 v8, s10
	buffer_wbl2
	s_waitcnt vmcnt(0)
	global_atomic_add_x2 v[4:5], v[8:9], off offset:8
.LBB3_581:
	s_or_b64 exec, exec, s[12:13]
	s_waitcnt vmcnt(0)
	global_load_dwordx2 v[8:9], v[4:5], off offset:16
	s_waitcnt vmcnt(0)
	v_cmp_eq_u64_e32 vcc, 0, v[8:9]
	s_cbranch_vccnz .LBB3_583
; %bb.582:
	global_load_dword v4, v[4:5], off offset:24
	v_mov_b32_e32 v5, 0
	s_waitcnt vmcnt(0)
	v_and_b32_e32 v3, 0xffffff, v4
	v_readfirstlane_b32 m0, v3
	buffer_wbl2
	global_store_dwordx2 v[8:9], v[4:5], off
	s_sendmsg sendmsg(MSG_INTERRUPT)
.LBB3_583:
	s_or_b64 exec, exec, s[0:1]
	s_branch .LBB3_587
.LBB3_584:                              ;   in Loop: Header=BB3_587 Depth=1
	s_or_b64 exec, exec, s[0:1]
	v_readfirstlane_b32 s0, v3
	s_cmp_eq_u32 s0, 0
	s_cbranch_scc1 .LBB3_586
; %bb.585:                              ;   in Loop: Header=BB3_587 Depth=1
	s_sleep 1
	s_cbranch_execnz .LBB3_587
	s_branch .LBB3_589
.LBB3_586:
	s_branch .LBB3_589
.LBB3_587:                              ; =>This Inner Loop Header: Depth=1
	v_mov_b32_e32 v3, 1
	s_and_saveexec_b64 s[0:1], s[2:3]
	s_cbranch_execz .LBB3_584
; %bb.588:                              ;   in Loop: Header=BB3_587 Depth=1
	global_load_dword v3, v[0:1], off offset:20 glc
	s_waitcnt vmcnt(0)
	buffer_invl2
	buffer_wbinvl1_vol
	v_and_b32_e32 v3, 1, v3
	s_branch .LBB3_584
.LBB3_589:
	global_load_dwordx2 v[0:1], v[12:13], off
	s_and_saveexec_b64 s[0:1], s[2:3]
	s_cbranch_execz .LBB3_592
; %bb.590:
	v_mov_b32_e32 v3, 0
	global_load_dwordx2 v[4:5], v3, s[6:7] offset:40
	global_load_dwordx2 v[12:13], v3, s[6:7] offset:24 glc
	global_load_dwordx2 v[14:15], v3, s[6:7]
	v_mov_b32_e32 v7, s9
	s_mov_b64 s[2:3], 0
	s_waitcnt vmcnt(2)
	v_add_co_u32_e32 v11, vcc, 1, v4
	v_addc_co_u32_e32 v16, vcc, 0, v5, vcc
	v_add_co_u32_e32 v8, vcc, s8, v11
	v_addc_co_u32_e32 v9, vcc, v16, v7, vcc
	v_cmp_eq_u64_e32 vcc, 0, v[8:9]
	v_cndmask_b32_e32 v9, v9, v16, vcc
	v_cndmask_b32_e32 v8, v8, v11, vcc
	v_and_b32_e32 v5, v9, v5
	v_and_b32_e32 v4, v8, v4
	v_mul_lo_u32 v5, v5, 24
	v_mul_hi_u32 v7, v4, 24
	v_mul_lo_u32 v4, v4, 24
	v_add_u32_e32 v5, v7, v5
	s_waitcnt vmcnt(0)
	v_add_co_u32_e32 v4, vcc, v14, v4
	v_addc_co_u32_e32 v5, vcc, v15, v5, vcc
	v_mov_b32_e32 v10, v12
	global_store_dwordx2 v[4:5], v[12:13], off
	v_mov_b32_e32 v11, v13
	buffer_wbl2
	s_waitcnt vmcnt(0)
	global_atomic_cmpswap_x2 v[10:11], v3, v[8:11], s[6:7] offset:24 glc
	s_waitcnt vmcnt(0)
	v_cmp_ne_u64_e32 vcc, v[10:11], v[12:13]
	s_and_b64 exec, exec, vcc
	s_cbranch_execz .LBB3_592
.LBB3_591:                              ; =>This Inner Loop Header: Depth=1
	s_sleep 1
	global_store_dwordx2 v[4:5], v[10:11], off
	buffer_wbl2
	s_waitcnt vmcnt(0)
	global_atomic_cmpswap_x2 v[12:13], v3, v[8:11], s[6:7] offset:24 glc
	s_waitcnt vmcnt(0)
	v_cmp_eq_u64_e32 vcc, v[12:13], v[10:11]
	s_or_b64 s[2:3], vcc, s[2:3]
	v_pk_mov_b32 v[10:11], v[12:13], v[12:13] op_sel:[0,1]
	s_andn2_b64 exec, exec, s[2:3]
	s_cbranch_execnz .LBB3_591
.LBB3_592:
	s_or_b64 exec, exec, s[0:1]
	v_readfirstlane_b32 s0, v38
	v_cmp_eq_u32_e64 s[0:1], s0, v38
	v_pk_mov_b32 v[4:5], 0, 0
	s_and_saveexec_b64 s[2:3], s[0:1]
	s_cbranch_execz .LBB3_598
; %bb.593:
	v_mov_b32_e32 v3, 0
	global_load_dwordx2 v[10:11], v3, s[6:7] offset:24 glc
	s_waitcnt vmcnt(0)
	buffer_invl2
	buffer_wbinvl1_vol
	global_load_dwordx2 v[4:5], v3, s[6:7] offset:40
	global_load_dwordx2 v[8:9], v3, s[6:7]
	s_waitcnt vmcnt(1)
	v_and_b32_e32 v4, v4, v10
	v_and_b32_e32 v5, v5, v11
	v_mul_lo_u32 v5, v5, 24
	v_mul_hi_u32 v7, v4, 24
	v_mul_lo_u32 v4, v4, 24
	v_add_u32_e32 v5, v7, v5
	s_waitcnt vmcnt(0)
	v_add_co_u32_e32 v4, vcc, v8, v4
	v_addc_co_u32_e32 v5, vcc, v9, v5, vcc
	global_load_dwordx2 v[8:9], v[4:5], off glc
	s_waitcnt vmcnt(0)
	global_atomic_cmpswap_x2 v[4:5], v3, v[8:11], s[6:7] offset:24 glc
	s_waitcnt vmcnt(0)
	buffer_invl2
	buffer_wbinvl1_vol
	v_cmp_ne_u64_e32 vcc, v[4:5], v[10:11]
	s_and_saveexec_b64 s[8:9], vcc
	s_cbranch_execz .LBB3_597
; %bb.594:
	s_mov_b64 s[10:11], 0
.LBB3_595:                              ; =>This Inner Loop Header: Depth=1
	s_sleep 1
	global_load_dwordx2 v[8:9], v3, s[6:7] offset:40
	global_load_dwordx2 v[12:13], v3, s[6:7]
	v_pk_mov_b32 v[10:11], v[4:5], v[4:5] op_sel:[0,1]
	s_waitcnt vmcnt(1)
	v_and_b32_e32 v4, v8, v10
	s_waitcnt vmcnt(0)
	v_mad_u64_u32 v[4:5], s[12:13], v4, 24, v[12:13]
	v_and_b32_e32 v7, v9, v11
	v_mov_b32_e32 v8, v5
	v_mad_u64_u32 v[8:9], s[12:13], v7, 24, v[8:9]
	v_mov_b32_e32 v5, v8
	global_load_dwordx2 v[8:9], v[4:5], off glc
	s_waitcnt vmcnt(0)
	global_atomic_cmpswap_x2 v[4:5], v3, v[8:11], s[6:7] offset:24 glc
	s_waitcnt vmcnt(0)
	buffer_invl2
	buffer_wbinvl1_vol
	v_cmp_eq_u64_e32 vcc, v[4:5], v[10:11]
	s_or_b64 s[10:11], vcc, s[10:11]
	s_andn2_b64 exec, exec, s[10:11]
	s_cbranch_execnz .LBB3_595
; %bb.596:
	s_or_b64 exec, exec, s[10:11]
.LBB3_597:
	s_or_b64 exec, exec, s[8:9]
.LBB3_598:
	s_or_b64 exec, exec, s[2:3]
	v_mov_b32_e32 v3, 0
	global_load_dwordx2 v[12:13], v3, s[6:7] offset:40
	global_load_dwordx4 v[8:11], v3, s[6:7]
	v_readfirstlane_b32 s2, v4
	v_readfirstlane_b32 s3, v5
	s_mov_b64 s[8:9], exec
	s_waitcnt vmcnt(1)
	v_readfirstlane_b32 s10, v12
	v_readfirstlane_b32 s11, v13
	s_and_b64 s[10:11], s[2:3], s[10:11]
	s_mul_i32 s12, s11, 24
	s_mul_hi_u32 s13, s10, 24
	s_mul_i32 s14, s10, 24
	s_add_i32 s12, s13, s12
	v_mov_b32_e32 v5, s12
	s_waitcnt vmcnt(0)
	v_add_co_u32_e32 v4, vcc, s14, v8
	v_addc_co_u32_e32 v5, vcc, v9, v5, vcc
	s_and_saveexec_b64 s[12:13], s[0:1]
	s_cbranch_execz .LBB3_600
; %bb.599:
	v_pk_mov_b32 v[12:13], s[8:9], s[8:9] op_sel:[0,1]
	v_mov_b32_e32 v14, 2
	v_mov_b32_e32 v15, 1
	global_store_dwordx4 v[4:5], v[12:15], off offset:8
.LBB3_600:
	s_or_b64 exec, exec, s[12:13]
	s_lshl_b64 s[8:9], s[10:11], 12
	v_mov_b32_e32 v7, s9
	v_add_co_u32_e32 v12, vcc, s8, v10
	v_addc_co_u32_e32 v7, vcc, v11, v7, vcc
	s_mov_b32 s8, 0
	s_movk_i32 s9, 0xff1f
	v_and_or_b32 v0, v0, s9, 32
	v_readfirstlane_b32 s12, v12
	v_readfirstlane_b32 s13, v7
	s_mov_b32 s9, s8
	v_add_co_u32_e32 v10, vcc, v12, v37
	s_mov_b32 s10, s8
	s_mov_b32 s11, s8
	s_nop 0
	global_store_dwordx4 v37, v[0:3], s[12:13]
	v_addc_co_u32_e32 v11, vcc, 0, v7, vcc
	v_pk_mov_b32 v[0:1], s[8:9], s[8:9] op_sel:[0,1]
	v_pk_mov_b32 v[2:3], s[10:11], s[10:11] op_sel:[0,1]
	global_store_dwordx4 v37, v[0:3], s[12:13] offset:16
	global_store_dwordx4 v37, v[0:3], s[12:13] offset:32
	;; [unrolled: 1-line block ×3, first 2 shown]
	s_and_saveexec_b64 s[8:9], s[0:1]
	s_cbranch_execz .LBB3_608
; %bb.601:
	v_mov_b32_e32 v7, 0
	global_load_dwordx2 v[14:15], v7, s[6:7] offset:32 glc
	global_load_dwordx2 v[0:1], v7, s[6:7] offset:40
	v_mov_b32_e32 v12, s2
	v_mov_b32_e32 v13, s3
	s_waitcnt vmcnt(0)
	v_readfirstlane_b32 s10, v0
	v_readfirstlane_b32 s11, v1
	s_and_b64 s[10:11], s[10:11], s[2:3]
	s_mul_i32 s11, s11, 24
	s_mul_hi_u32 s12, s10, 24
	s_mul_i32 s10, s10, 24
	s_add_i32 s11, s12, s11
	v_mov_b32_e32 v0, s11
	v_add_co_u32_e32 v8, vcc, s10, v8
	v_addc_co_u32_e32 v9, vcc, v9, v0, vcc
	global_store_dwordx2 v[8:9], v[14:15], off
	buffer_wbl2
	s_waitcnt vmcnt(0)
	global_atomic_cmpswap_x2 v[2:3], v7, v[12:15], s[6:7] offset:32 glc
	s_waitcnt vmcnt(0)
	v_cmp_ne_u64_e32 vcc, v[2:3], v[14:15]
	s_and_saveexec_b64 s[10:11], vcc
	s_cbranch_execz .LBB3_604
; %bb.602:
	s_mov_b64 s[12:13], 0
.LBB3_603:                              ; =>This Inner Loop Header: Depth=1
	s_sleep 1
	global_store_dwordx2 v[8:9], v[2:3], off
	v_mov_b32_e32 v0, s2
	v_mov_b32_e32 v1, s3
	buffer_wbl2
	s_waitcnt vmcnt(0)
	global_atomic_cmpswap_x2 v[0:1], v7, v[0:3], s[6:7] offset:32 glc
	s_waitcnt vmcnt(0)
	v_cmp_eq_u64_e32 vcc, v[0:1], v[2:3]
	s_or_b64 s[12:13], vcc, s[12:13]
	v_pk_mov_b32 v[2:3], v[0:1], v[0:1] op_sel:[0,1]
	s_andn2_b64 exec, exec, s[12:13]
	s_cbranch_execnz .LBB3_603
.LBB3_604:
	s_or_b64 exec, exec, s[10:11]
	v_mov_b32_e32 v3, 0
	global_load_dwordx2 v[0:1], v3, s[6:7] offset:16
	s_mov_b64 s[10:11], exec
	v_mbcnt_lo_u32_b32 v2, s10, 0
	v_mbcnt_hi_u32_b32 v2, s11, v2
	v_cmp_eq_u32_e32 vcc, 0, v2
	s_and_saveexec_b64 s[12:13], vcc
	s_cbranch_execz .LBB3_606
; %bb.605:
	s_bcnt1_i32_b64 s10, s[10:11]
	v_mov_b32_e32 v2, s10
	buffer_wbl2
	s_waitcnt vmcnt(0)
	global_atomic_add_x2 v[0:1], v[2:3], off offset:8
.LBB3_606:
	s_or_b64 exec, exec, s[12:13]
	s_waitcnt vmcnt(0)
	global_load_dwordx2 v[2:3], v[0:1], off offset:16
	s_waitcnt vmcnt(0)
	v_cmp_eq_u64_e32 vcc, 0, v[2:3]
	s_cbranch_vccnz .LBB3_608
; %bb.607:
	global_load_dword v0, v[0:1], off offset:24
	v_mov_b32_e32 v1, 0
	buffer_wbl2
	s_waitcnt vmcnt(0)
	global_store_dwordx2 v[2:3], v[0:1], off
	v_and_b32_e32 v0, 0xffffff, v0
	v_readfirstlane_b32 m0, v0
	s_sendmsg sendmsg(MSG_INTERRUPT)
.LBB3_608:
	s_or_b64 exec, exec, s[8:9]
	s_branch .LBB3_612
.LBB3_609:                              ;   in Loop: Header=BB3_612 Depth=1
	s_or_b64 exec, exec, s[8:9]
	v_readfirstlane_b32 s8, v0
	s_cmp_eq_u32 s8, 0
	s_cbranch_scc1 .LBB3_611
; %bb.610:                              ;   in Loop: Header=BB3_612 Depth=1
	s_sleep 1
	s_cbranch_execnz .LBB3_612
	s_branch .LBB3_614
.LBB3_611:
	s_branch .LBB3_614
.LBB3_612:                              ; =>This Inner Loop Header: Depth=1
	v_mov_b32_e32 v0, 1
	s_and_saveexec_b64 s[8:9], s[0:1]
	s_cbranch_execz .LBB3_609
; %bb.613:                              ;   in Loop: Header=BB3_612 Depth=1
	global_load_dword v0, v[4:5], off offset:20 glc
	s_waitcnt vmcnt(0)
	buffer_invl2
	buffer_wbinvl1_vol
	v_and_b32_e32 v0, 1, v0
	s_branch .LBB3_609
.LBB3_614:
	global_load_dwordx2 v[0:1], v[10:11], off
	s_and_saveexec_b64 s[8:9], s[0:1]
	s_cbranch_execz .LBB3_617
; %bb.615:
	v_mov_b32_e32 v7, 0
	global_load_dwordx2 v[8:9], v7, s[6:7] offset:40
	global_load_dwordx2 v[10:11], v7, s[6:7] offset:24 glc
	global_load_dwordx2 v[12:13], v7, s[6:7]
	v_mov_b32_e32 v3, s3
	s_mov_b64 s[0:1], 0
	s_waitcnt vmcnt(2)
	v_add_co_u32_e32 v5, vcc, 1, v8
	v_addc_co_u32_e32 v14, vcc, 0, v9, vcc
	v_add_co_u32_e32 v2, vcc, s2, v5
	v_addc_co_u32_e32 v3, vcc, v14, v3, vcc
	v_cmp_eq_u64_e32 vcc, 0, v[2:3]
	v_cndmask_b32_e32 v3, v3, v14, vcc
	v_cndmask_b32_e32 v2, v2, v5, vcc
	v_and_b32_e32 v5, v3, v9
	v_and_b32_e32 v8, v2, v8
	v_mul_lo_u32 v5, v5, 24
	v_mul_hi_u32 v9, v8, 24
	v_mul_lo_u32 v8, v8, 24
	v_add_u32_e32 v5, v9, v5
	s_waitcnt vmcnt(0)
	v_add_co_u32_e32 v8, vcc, v12, v8
	v_addc_co_u32_e32 v9, vcc, v13, v5, vcc
	v_mov_b32_e32 v4, v10
	global_store_dwordx2 v[8:9], v[10:11], off
	v_mov_b32_e32 v5, v11
	buffer_wbl2
	s_waitcnt vmcnt(0)
	global_atomic_cmpswap_x2 v[4:5], v7, v[2:5], s[6:7] offset:24 glc
	s_waitcnt vmcnt(0)
	v_cmp_ne_u64_e32 vcc, v[4:5], v[10:11]
	s_and_b64 exec, exec, vcc
	s_cbranch_execz .LBB3_617
.LBB3_616:                              ; =>This Inner Loop Header: Depth=1
	s_sleep 1
	global_store_dwordx2 v[8:9], v[4:5], off
	buffer_wbl2
	s_waitcnt vmcnt(0)
	global_atomic_cmpswap_x2 v[10:11], v7, v[2:5], s[6:7] offset:24 glc
	s_waitcnt vmcnt(0)
	v_cmp_eq_u64_e32 vcc, v[10:11], v[4:5]
	s_or_b64 s[0:1], vcc, s[0:1]
	v_pk_mov_b32 v[4:5], v[10:11], v[10:11] op_sel:[0,1]
	s_andn2_b64 exec, exec, s[0:1]
	s_cbranch_execnz .LBB3_616
.LBB3_617:
	s_or_b64 exec, exec, s[8:9]
	v_readfirstlane_b32 s0, v38
	v_cmp_eq_u32_e64 s[0:1], s0, v38
	v_pk_mov_b32 v[4:5], 0, 0
	s_and_saveexec_b64 s[2:3], s[0:1]
	s_cbranch_execz .LBB3_623
; %bb.618:
	v_mov_b32_e32 v2, 0
	global_load_dwordx2 v[10:11], v2, s[6:7] offset:24 glc
	s_waitcnt vmcnt(0)
	buffer_invl2
	buffer_wbinvl1_vol
	global_load_dwordx2 v[4:5], v2, s[6:7] offset:40
	global_load_dwordx2 v[8:9], v2, s[6:7]
	s_waitcnt vmcnt(1)
	v_and_b32_e32 v3, v4, v10
	v_and_b32_e32 v4, v5, v11
	v_mul_lo_u32 v4, v4, 24
	v_mul_hi_u32 v5, v3, 24
	v_mul_lo_u32 v3, v3, 24
	v_add_u32_e32 v5, v5, v4
	s_waitcnt vmcnt(0)
	v_add_co_u32_e32 v4, vcc, v8, v3
	v_addc_co_u32_e32 v5, vcc, v9, v5, vcc
	global_load_dwordx2 v[8:9], v[4:5], off glc
	s_waitcnt vmcnt(0)
	global_atomic_cmpswap_x2 v[4:5], v2, v[8:11], s[6:7] offset:24 glc
	s_waitcnt vmcnt(0)
	buffer_invl2
	buffer_wbinvl1_vol
	v_cmp_ne_u64_e32 vcc, v[4:5], v[10:11]
	s_and_saveexec_b64 s[8:9], vcc
	s_cbranch_execz .LBB3_622
; %bb.619:
	s_mov_b64 s[10:11], 0
.LBB3_620:                              ; =>This Inner Loop Header: Depth=1
	s_sleep 1
	global_load_dwordx2 v[8:9], v2, s[6:7] offset:40
	global_load_dwordx2 v[12:13], v2, s[6:7]
	v_pk_mov_b32 v[10:11], v[4:5], v[4:5] op_sel:[0,1]
	s_waitcnt vmcnt(1)
	v_and_b32_e32 v4, v8, v10
	s_waitcnt vmcnt(0)
	v_mad_u64_u32 v[4:5], s[12:13], v4, 24, v[12:13]
	v_and_b32_e32 v3, v9, v11
	v_mov_b32_e32 v8, v5
	v_mad_u64_u32 v[8:9], s[12:13], v3, 24, v[8:9]
	v_mov_b32_e32 v5, v8
	global_load_dwordx2 v[8:9], v[4:5], off glc
	s_waitcnt vmcnt(0)
	global_atomic_cmpswap_x2 v[4:5], v2, v[8:11], s[6:7] offset:24 glc
	s_waitcnt vmcnt(0)
	buffer_invl2
	buffer_wbinvl1_vol
	v_cmp_eq_u64_e32 vcc, v[4:5], v[10:11]
	s_or_b64 s[10:11], vcc, s[10:11]
	s_andn2_b64 exec, exec, s[10:11]
	s_cbranch_execnz .LBB3_620
; %bb.621:
	s_or_b64 exec, exec, s[10:11]
.LBB3_622:
	s_or_b64 exec, exec, s[8:9]
.LBB3_623:
	s_or_b64 exec, exec, s[2:3]
	v_mov_b32_e32 v3, 0
	global_load_dwordx2 v[12:13], v3, s[6:7] offset:40
	global_load_dwordx4 v[8:11], v3, s[6:7]
	v_readfirstlane_b32 s2, v4
	v_readfirstlane_b32 s3, v5
	s_mov_b64 s[8:9], exec
	s_waitcnt vmcnt(1)
	v_readfirstlane_b32 s10, v12
	v_readfirstlane_b32 s11, v13
	s_and_b64 s[10:11], s[2:3], s[10:11]
	s_mul_i32 s12, s11, 24
	s_mul_hi_u32 s13, s10, 24
	s_mul_i32 s14, s10, 24
	s_add_i32 s12, s13, s12
	v_mov_b32_e32 v2, s12
	s_waitcnt vmcnt(0)
	v_add_co_u32_e32 v4, vcc, s14, v8
	v_addc_co_u32_e32 v5, vcc, v9, v2, vcc
	s_and_saveexec_b64 s[12:13], s[0:1]
	s_cbranch_execz .LBB3_625
; %bb.624:
	v_pk_mov_b32 v[12:13], s[8:9], s[8:9] op_sel:[0,1]
	v_mov_b32_e32 v14, 2
	v_mov_b32_e32 v15, 1
	global_store_dwordx4 v[4:5], v[12:15], off offset:8
.LBB3_625:
	s_or_b64 exec, exec, s[12:13]
	s_lshl_b64 s[8:9], s[10:11], 12
	v_mov_b32_e32 v2, s9
	v_add_co_u32_e32 v10, vcc, s8, v10
	v_addc_co_u32_e32 v7, vcc, v11, v2, vcc
	s_mov_b32 s8, 0
	s_movk_i32 s9, 0xff1d
	v_and_or_b32 v0, v0, s9, 34
	v_mov_b32_e32 v2, s22
	v_readfirstlane_b32 s12, v10
	v_readfirstlane_b32 s13, v7
	s_mov_b32 s9, s8
	s_mov_b32 s10, s8
	;; [unrolled: 1-line block ×3, first 2 shown]
	s_nop 1
	global_store_dwordx4 v37, v[0:3], s[12:13]
	s_nop 0
	v_pk_mov_b32 v[0:1], s[8:9], s[8:9] op_sel:[0,1]
	v_pk_mov_b32 v[2:3], s[10:11], s[10:11] op_sel:[0,1]
	global_store_dwordx4 v37, v[0:3], s[12:13] offset:16
	global_store_dwordx4 v37, v[0:3], s[12:13] offset:32
	;; [unrolled: 1-line block ×3, first 2 shown]
	s_and_saveexec_b64 s[8:9], s[0:1]
	s_cbranch_execz .LBB3_633
; %bb.626:
	v_mov_b32_e32 v7, 0
	global_load_dwordx2 v[12:13], v7, s[6:7] offset:32 glc
	global_load_dwordx2 v[0:1], v7, s[6:7] offset:40
	v_mov_b32_e32 v10, s2
	v_mov_b32_e32 v11, s3
	s_waitcnt vmcnt(0)
	v_readfirstlane_b32 s10, v0
	v_readfirstlane_b32 s11, v1
	s_and_b64 s[10:11], s[10:11], s[2:3]
	s_mul_i32 s11, s11, 24
	s_mul_hi_u32 s12, s10, 24
	s_mul_i32 s10, s10, 24
	s_add_i32 s11, s12, s11
	v_mov_b32_e32 v0, s11
	v_add_co_u32_e32 v8, vcc, s10, v8
	v_addc_co_u32_e32 v9, vcc, v9, v0, vcc
	global_store_dwordx2 v[8:9], v[12:13], off
	buffer_wbl2
	s_waitcnt vmcnt(0)
	global_atomic_cmpswap_x2 v[2:3], v7, v[10:13], s[6:7] offset:32 glc
	s_waitcnt vmcnt(0)
	v_cmp_ne_u64_e32 vcc, v[2:3], v[12:13]
	s_and_saveexec_b64 s[10:11], vcc
	s_cbranch_execz .LBB3_629
; %bb.627:
	s_mov_b64 s[12:13], 0
.LBB3_628:                              ; =>This Inner Loop Header: Depth=1
	s_sleep 1
	global_store_dwordx2 v[8:9], v[2:3], off
	v_mov_b32_e32 v0, s2
	v_mov_b32_e32 v1, s3
	buffer_wbl2
	s_waitcnt vmcnt(0)
	global_atomic_cmpswap_x2 v[0:1], v7, v[0:3], s[6:7] offset:32 glc
	s_waitcnt vmcnt(0)
	v_cmp_eq_u64_e32 vcc, v[0:1], v[2:3]
	s_or_b64 s[12:13], vcc, s[12:13]
	v_pk_mov_b32 v[2:3], v[0:1], v[0:1] op_sel:[0,1]
	s_andn2_b64 exec, exec, s[12:13]
	s_cbranch_execnz .LBB3_628
.LBB3_629:
	s_or_b64 exec, exec, s[10:11]
	v_mov_b32_e32 v3, 0
	global_load_dwordx2 v[0:1], v3, s[6:7] offset:16
	s_mov_b64 s[10:11], exec
	v_mbcnt_lo_u32_b32 v2, s10, 0
	v_mbcnt_hi_u32_b32 v2, s11, v2
	v_cmp_eq_u32_e32 vcc, 0, v2
	s_and_saveexec_b64 s[12:13], vcc
	s_cbranch_execz .LBB3_631
; %bb.630:
	s_bcnt1_i32_b64 s10, s[10:11]
	v_mov_b32_e32 v2, s10
	buffer_wbl2
	s_waitcnt vmcnt(0)
	global_atomic_add_x2 v[0:1], v[2:3], off offset:8
.LBB3_631:
	s_or_b64 exec, exec, s[12:13]
	s_waitcnt vmcnt(0)
	global_load_dwordx2 v[2:3], v[0:1], off offset:16
	s_waitcnt vmcnt(0)
	v_cmp_eq_u64_e32 vcc, 0, v[2:3]
	s_cbranch_vccnz .LBB3_633
; %bb.632:
	global_load_dword v0, v[0:1], off offset:24
	v_mov_b32_e32 v1, 0
	buffer_wbl2
	s_waitcnt vmcnt(0)
	global_store_dwordx2 v[2:3], v[0:1], off
	v_and_b32_e32 v0, 0xffffff, v0
	v_readfirstlane_b32 m0, v0
	s_sendmsg sendmsg(MSG_INTERRUPT)
.LBB3_633:
	s_or_b64 exec, exec, s[8:9]
	s_branch .LBB3_637
.LBB3_634:                              ;   in Loop: Header=BB3_637 Depth=1
	s_or_b64 exec, exec, s[8:9]
	v_readfirstlane_b32 s8, v0
	s_cmp_eq_u32 s8, 0
	s_cbranch_scc1 .LBB3_636
; %bb.635:                              ;   in Loop: Header=BB3_637 Depth=1
	s_sleep 1
	s_cbranch_execnz .LBB3_637
	s_branch .LBB3_639
.LBB3_636:
	s_branch .LBB3_639
.LBB3_637:                              ; =>This Inner Loop Header: Depth=1
	v_mov_b32_e32 v0, 1
	s_and_saveexec_b64 s[8:9], s[0:1]
	s_cbranch_execz .LBB3_634
; %bb.638:                              ;   in Loop: Header=BB3_637 Depth=1
	global_load_dword v0, v[4:5], off offset:20 glc
	s_waitcnt vmcnt(0)
	buffer_invl2
	buffer_wbinvl1_vol
	v_and_b32_e32 v0, 1, v0
	s_branch .LBB3_634
.LBB3_639:
	s_and_saveexec_b64 s[8:9], s[0:1]
	s_cbranch_execz .LBB3_642
; %bb.640:
	v_mov_b32_e32 v7, 0
	global_load_dwordx2 v[4:5], v7, s[6:7] offset:40
	global_load_dwordx2 v[8:9], v7, s[6:7] offset:24 glc
	global_load_dwordx2 v[10:11], v7, s[6:7]
	v_mov_b32_e32 v1, s3
	s_mov_b64 s[0:1], 0
	s_waitcnt vmcnt(2)
	v_add_co_u32_e32 v3, vcc, 1, v4
	v_addc_co_u32_e32 v12, vcc, 0, v5, vcc
	v_add_co_u32_e32 v0, vcc, s2, v3
	v_addc_co_u32_e32 v1, vcc, v12, v1, vcc
	v_cmp_eq_u64_e32 vcc, 0, v[0:1]
	v_cndmask_b32_e32 v1, v1, v12, vcc
	v_cndmask_b32_e32 v0, v0, v3, vcc
	v_and_b32_e32 v3, v1, v5
	v_and_b32_e32 v4, v0, v4
	v_mul_lo_u32 v3, v3, 24
	v_mul_hi_u32 v5, v4, 24
	v_mul_lo_u32 v4, v4, 24
	v_add_u32_e32 v3, v5, v3
	s_waitcnt vmcnt(0)
	v_add_co_u32_e32 v4, vcc, v10, v4
	v_addc_co_u32_e32 v5, vcc, v11, v3, vcc
	v_mov_b32_e32 v2, v8
	global_store_dwordx2 v[4:5], v[8:9], off
	v_mov_b32_e32 v3, v9
	buffer_wbl2
	s_waitcnt vmcnt(0)
	global_atomic_cmpswap_x2 v[2:3], v7, v[0:3], s[6:7] offset:24 glc
	s_waitcnt vmcnt(0)
	v_cmp_ne_u64_e32 vcc, v[2:3], v[8:9]
	s_and_b64 exec, exec, vcc
	s_cbranch_execz .LBB3_642
.LBB3_641:                              ; =>This Inner Loop Header: Depth=1
	s_sleep 1
	global_store_dwordx2 v[4:5], v[2:3], off
	buffer_wbl2
	s_waitcnt vmcnt(0)
	global_atomic_cmpswap_x2 v[8:9], v7, v[0:3], s[6:7] offset:24 glc
	s_waitcnt vmcnt(0)
	v_cmp_eq_u64_e32 vcc, v[8:9], v[2:3]
	s_or_b64 s[0:1], vcc, s[0:1]
	v_pk_mov_b32 v[2:3], v[8:9], v[8:9] op_sel:[0,1]
	s_andn2_b64 exec, exec, s[0:1]
	s_cbranch_execnz .LBB3_641
.LBB3_642:
	s_or_b64 exec, exec, s[8:9]
	v_cvt_f32_u32_e32 v0, s30
	s_sub_i32 s2, 0, s30
	s_load_dwordx2 s[0:1], s[4:5], 0x8
	v_rcp_iflag_f32_e32 v0, v0
	v_mul_f32_e32 v0, 0x4f7ffffe, v0
	v_cvt_u32_f32_e32 v0, v0
	v_mul_lo_u32 v1, s2, v0
	v_mul_hi_u32 v1, v0, v1
	v_add_u32_e32 v0, v0, v1
	v_mul_hi_u32 v0, v36, v0
	v_mul_lo_u32 v1, v0, s30
	v_sub_u32_e32 v1, v36, v1
	v_add_u32_e32 v2, 1, v0
	v_cmp_le_u32_e32 vcc, s30, v1
	v_cndmask_b32_e32 v0, v0, v2, vcc
	v_subrev_u32_e32 v2, s30, v1
	v_cndmask_b32_e32 v1, v1, v2, vcc
	v_add_u32_e32 v2, 1, v0
	v_cmp_le_u32_e32 vcc, s30, v1
	v_cndmask_b32_e32 v0, v0, v2, vcc
	v_lshlrev_b32_e32 v0, 2, v0
	s_waitcnt lgkmcnt(0)
	global_store_dword v0, v6, s[0:1]
.LBB3_643:
	s_endpgm
	.section	.rodata,"a",@progbits
	.p2align	6, 0x0
	.amdhsa_kernel _Z35kernel_cg_coalesced_group_partitionjPibS_i
		.amdhsa_group_segment_fixed_size 0
		.amdhsa_private_segment_fixed_size 0
		.amdhsa_kernarg_size 296
		.amdhsa_user_sgpr_count 6
		.amdhsa_user_sgpr_private_segment_buffer 1
		.amdhsa_user_sgpr_dispatch_ptr 0
		.amdhsa_user_sgpr_queue_ptr 0
		.amdhsa_user_sgpr_kernarg_segment_ptr 1
		.amdhsa_user_sgpr_dispatch_id 0
		.amdhsa_user_sgpr_flat_scratch_init 0
		.amdhsa_user_sgpr_kernarg_preload_length 0
		.amdhsa_user_sgpr_kernarg_preload_offset 0
		.amdhsa_user_sgpr_private_segment_size 0
		.amdhsa_uses_dynamic_stack 0
		.amdhsa_system_sgpr_private_segment_wavefront_offset 0
		.amdhsa_system_sgpr_workgroup_id_x 1
		.amdhsa_system_sgpr_workgroup_id_y 0
		.amdhsa_system_sgpr_workgroup_id_z 0
		.amdhsa_system_sgpr_workgroup_info 0
		.amdhsa_system_vgpr_workitem_id 0
		.amdhsa_next_free_vgpr 40
		.amdhsa_next_free_sgpr 34
		.amdhsa_accum_offset 40
		.amdhsa_reserve_vcc 1
		.amdhsa_reserve_flat_scratch 0
		.amdhsa_float_round_mode_32 0
		.amdhsa_float_round_mode_16_64 0
		.amdhsa_float_denorm_mode_32 3
		.amdhsa_float_denorm_mode_16_64 3
		.amdhsa_dx10_clamp 1
		.amdhsa_ieee_mode 1
		.amdhsa_fp16_overflow 0
		.amdhsa_tg_split 0
		.amdhsa_exception_fp_ieee_invalid_op 0
		.amdhsa_exception_fp_denorm_src 0
		.amdhsa_exception_fp_ieee_div_zero 0
		.amdhsa_exception_fp_ieee_overflow 0
		.amdhsa_exception_fp_ieee_underflow 0
		.amdhsa_exception_fp_ieee_inexact 0
		.amdhsa_exception_int_div_zero 0
	.end_amdhsa_kernel
	.text
.Lfunc_end3:
	.size	_Z35kernel_cg_coalesced_group_partitionjPibS_i, .Lfunc_end3-_Z35kernel_cg_coalesced_group_partitionjPibS_i
                                        ; -- End function
	.section	.AMDGPU.csdata,"",@progbits
; Kernel info:
; codeLenInByte = 25960
; NumSgprs: 38
; NumVgprs: 40
; NumAgprs: 0
; TotalNumVgprs: 40
; ScratchSize: 0
; MemoryBound: 0
; FloatMode: 240
; IeeeMode: 1
; LDSByteSize: 0 bytes/workgroup (compile time only)
; SGPRBlocks: 4
; VGPRBlocks: 4
; NumSGPRsForWavesPerEU: 38
; NumVGPRsForWavesPerEU: 40
; AccumOffset: 40
; Occupancy: 8
; WaveLimiterHint : 1
; COMPUTE_PGM_RSRC2:SCRATCH_EN: 0
; COMPUTE_PGM_RSRC2:USER_SGPR: 6
; COMPUTE_PGM_RSRC2:TRAP_HANDLER: 0
; COMPUTE_PGM_RSRC2:TGID_X_EN: 1
; COMPUTE_PGM_RSRC2:TGID_Y_EN: 0
; COMPUTE_PGM_RSRC2:TGID_Z_EN: 0
; COMPUTE_PGM_RSRC2:TIDIG_COMP_CNT: 0
; COMPUTE_PGM_RSRC3_GFX90A:ACCUM_OFFSET: 9
; COMPUTE_PGM_RSRC3_GFX90A:TG_SPLIT: 0
	.text
	.protected	_Z30kernel_coalesced_active_groupsv ; -- Begin function _Z30kernel_coalesced_active_groupsv
	.globl	_Z30kernel_coalesced_active_groupsv
	.p2align	8
	.type	_Z30kernel_coalesced_active_groupsv,@function
_Z30kernel_coalesced_active_groupsv:    ; @_Z30kernel_coalesced_active_groupsv
; %bb.0:
	s_load_dword s0, s[4:5], 0xc
	v_bfe_u32 v1, v0, 10, 10
	v_bfe_u32 v2, v0, 20, 10
	v_and_b32_e32 v0, 0x3ff, v0
	s_waitcnt lgkmcnt(0)
	s_lshr_b32 s1, s0, 16
	s_and_b32 s0, s0, 0xffff
	v_mad_u32_u24 v1, v2, s1, v1
	v_mad_u64_u32 v[2:3], s[0:1], v1, s0, v[0:1]
	v_cmp_eq_u32_e32 vcc, 0, v2
	s_and_saveexec_b64 s[2:3], vcc
	s_cbranch_execz .LBB4_137
; %bb.1:
	s_load_dwordx2 s[6:7], s[4:5], 0x50
	v_mbcnt_lo_u32_b32 v0, -1, 0
	v_mbcnt_hi_u32_b32 v33, -1, v0
	v_readfirstlane_b32 s0, v33
	v_cmp_eq_u32_e64 s[0:1], s0, v33
	v_pk_mov_b32 v[0:1], 0, 0
	s_and_saveexec_b64 s[8:9], s[0:1]
	s_cbranch_execz .LBB4_7
; %bb.2:
	v_mov_b32_e32 v3, 0
	s_waitcnt lgkmcnt(0)
	global_load_dwordx2 v[6:7], v3, s[6:7] offset:24 glc
	s_waitcnt vmcnt(0)
	buffer_invl2
	buffer_wbinvl1_vol
	global_load_dwordx2 v[0:1], v3, s[6:7] offset:40
	global_load_dwordx2 v[4:5], v3, s[6:7]
	s_waitcnt vmcnt(1)
	v_and_b32_e32 v0, v0, v6
	v_and_b32_e32 v1, v1, v7
	v_mul_lo_u32 v1, v1, 24
	v_mul_hi_u32 v8, v0, 24
	v_mul_lo_u32 v0, v0, 24
	v_add_u32_e32 v1, v8, v1
	s_waitcnt vmcnt(0)
	v_add_co_u32_e32 v0, vcc, v4, v0
	v_addc_co_u32_e32 v1, vcc, v5, v1, vcc
	global_load_dwordx2 v[4:5], v[0:1], off glc
	s_waitcnt vmcnt(0)
	global_atomic_cmpswap_x2 v[0:1], v3, v[4:7], s[6:7] offset:24 glc
	s_waitcnt vmcnt(0)
	buffer_invl2
	buffer_wbinvl1_vol
	v_cmp_ne_u64_e32 vcc, v[0:1], v[6:7]
	s_and_saveexec_b64 s[10:11], vcc
	s_cbranch_execz .LBB4_6
; %bb.3:
	s_mov_b64 s[12:13], 0
.LBB4_4:                                ; =>This Inner Loop Header: Depth=1
	s_sleep 1
	global_load_dwordx2 v[4:5], v3, s[6:7] offset:40
	global_load_dwordx2 v[8:9], v3, s[6:7]
	v_pk_mov_b32 v[6:7], v[0:1], v[0:1] op_sel:[0,1]
	s_waitcnt vmcnt(1)
	v_and_b32_e32 v0, v4, v6
	s_waitcnt vmcnt(0)
	v_mad_u64_u32 v[0:1], s[14:15], v0, 24, v[8:9]
	v_and_b32_e32 v5, v5, v7
	v_mov_b32_e32 v4, v1
	v_mad_u64_u32 v[4:5], s[14:15], v5, 24, v[4:5]
	v_mov_b32_e32 v1, v4
	global_load_dwordx2 v[4:5], v[0:1], off glc
	s_waitcnt vmcnt(0)
	global_atomic_cmpswap_x2 v[0:1], v3, v[4:7], s[6:7] offset:24 glc
	s_waitcnt vmcnt(0)
	buffer_invl2
	buffer_wbinvl1_vol
	v_cmp_eq_u64_e32 vcc, v[0:1], v[6:7]
	s_or_b64 s[12:13], vcc, s[12:13]
	s_andn2_b64 exec, exec, s[12:13]
	s_cbranch_execnz .LBB4_4
; %bb.5:
	s_or_b64 exec, exec, s[12:13]
.LBB4_6:
	s_or_b64 exec, exec, s[10:11]
.LBB4_7:
	s_or_b64 exec, exec, s[8:9]
	v_mov_b32_e32 v9, 0
	s_waitcnt lgkmcnt(0)
	global_load_dwordx2 v[10:11], v9, s[6:7] offset:40
	global_load_dwordx4 v[4:7], v9, s[6:7]
	v_readfirstlane_b32 s8, v0
	v_readfirstlane_b32 s9, v1
	s_mov_b64 s[10:11], exec
	s_waitcnt vmcnt(1)
	v_readfirstlane_b32 s12, v10
	v_readfirstlane_b32 s13, v11
	s_and_b64 s[12:13], s[8:9], s[12:13]
	s_mul_i32 s14, s13, 24
	s_mul_hi_u32 s15, s12, 24
	s_mul_i32 s16, s12, 24
	s_add_i32 s14, s15, s14
	v_mov_b32_e32 v1, s14
	s_waitcnt vmcnt(0)
	v_add_co_u32_e32 v0, vcc, s16, v4
	v_addc_co_u32_e32 v1, vcc, v5, v1, vcc
	s_and_saveexec_b64 s[14:15], s[0:1]
	s_cbranch_execz .LBB4_9
; %bb.8:
	v_pk_mov_b32 v[10:11], s[10:11], s[10:11] op_sel:[0,1]
	v_mov_b32_e32 v12, 2
	v_mov_b32_e32 v13, 1
	global_store_dwordx4 v[0:1], v[10:13], off offset:8
.LBB4_9:
	s_or_b64 exec, exec, s[14:15]
	s_lshl_b64 s[10:11], s[12:13], 12
	v_mov_b32_e32 v3, s11
	v_add_co_u32_e32 v6, vcc, s10, v6
	v_addc_co_u32_e32 v3, vcc, v7, v3, vcc
	s_mov_b32 s12, 0
	v_lshlrev_b32_e32 v32, 6, v33
	v_mov_b32_e32 v8, 33
	v_mov_b32_e32 v10, v9
	;; [unrolled: 1-line block ×3, first 2 shown]
	v_readfirstlane_b32 s10, v6
	v_readfirstlane_b32 s11, v3
	s_mov_b32 s13, s12
	v_add_co_u32_e32 v12, vcc, v6, v32
	s_mov_b32 s14, s12
	s_mov_b32 s15, s12
	s_nop 0
	global_store_dwordx4 v32, v[8:11], s[10:11]
	v_pk_mov_b32 v[6:7], s[12:13], s[12:13] op_sel:[0,1]
	v_addc_co_u32_e32 v13, vcc, 0, v3, vcc
	v_pk_mov_b32 v[8:9], s[14:15], s[14:15] op_sel:[0,1]
	global_store_dwordx4 v32, v[6:9], s[10:11] offset:16
	global_store_dwordx4 v32, v[6:9], s[10:11] offset:32
	;; [unrolled: 1-line block ×3, first 2 shown]
	s_and_saveexec_b64 s[10:11], s[0:1]
	s_cbranch_execz .LBB4_17
; %bb.10:
	v_mov_b32_e32 v3, 0
	global_load_dwordx2 v[16:17], v3, s[6:7] offset:32 glc
	global_load_dwordx2 v[6:7], v3, s[6:7] offset:40
	v_mov_b32_e32 v14, s8
	v_mov_b32_e32 v15, s9
	s_waitcnt vmcnt(0)
	v_and_b32_e32 v6, s8, v6
	v_and_b32_e32 v7, s9, v7
	v_mul_lo_u32 v7, v7, 24
	v_mul_hi_u32 v8, v6, 24
	v_mul_lo_u32 v6, v6, 24
	v_add_u32_e32 v7, v8, v7
	v_add_co_u32_e32 v8, vcc, v4, v6
	v_addc_co_u32_e32 v9, vcc, v5, v7, vcc
	global_store_dwordx2 v[8:9], v[16:17], off
	buffer_wbl2
	s_waitcnt vmcnt(0)
	global_atomic_cmpswap_x2 v[6:7], v3, v[14:17], s[6:7] offset:32 glc
	s_waitcnt vmcnt(0)
	v_cmp_ne_u64_e32 vcc, v[6:7], v[16:17]
	s_and_saveexec_b64 s[12:13], vcc
	s_cbranch_execz .LBB4_13
; %bb.11:
	s_mov_b64 s[14:15], 0
.LBB4_12:                               ; =>This Inner Loop Header: Depth=1
	s_sleep 1
	global_store_dwordx2 v[8:9], v[6:7], off
	v_mov_b32_e32 v4, s8
	v_mov_b32_e32 v5, s9
	buffer_wbl2
	s_waitcnt vmcnt(0)
	global_atomic_cmpswap_x2 v[4:5], v3, v[4:7], s[6:7] offset:32 glc
	s_waitcnt vmcnt(0)
	v_cmp_eq_u64_e32 vcc, v[4:5], v[6:7]
	s_or_b64 s[14:15], vcc, s[14:15]
	v_pk_mov_b32 v[6:7], v[4:5], v[4:5] op_sel:[0,1]
	s_andn2_b64 exec, exec, s[14:15]
	s_cbranch_execnz .LBB4_12
.LBB4_13:
	s_or_b64 exec, exec, s[12:13]
	v_mov_b32_e32 v7, 0
	global_load_dwordx2 v[4:5], v7, s[6:7] offset:16
	s_mov_b64 s[12:13], exec
	v_mbcnt_lo_u32_b32 v3, s12, 0
	v_mbcnt_hi_u32_b32 v3, s13, v3
	v_cmp_eq_u32_e32 vcc, 0, v3
	s_and_saveexec_b64 s[14:15], vcc
	s_cbranch_execz .LBB4_15
; %bb.14:
	s_bcnt1_i32_b64 s12, s[12:13]
	v_mov_b32_e32 v6, s12
	buffer_wbl2
	s_waitcnt vmcnt(0)
	global_atomic_add_x2 v[4:5], v[6:7], off offset:8
.LBB4_15:
	s_or_b64 exec, exec, s[14:15]
	s_waitcnt vmcnt(0)
	global_load_dwordx2 v[6:7], v[4:5], off offset:16
	s_waitcnt vmcnt(0)
	v_cmp_eq_u64_e32 vcc, 0, v[6:7]
	s_cbranch_vccnz .LBB4_17
; %bb.16:
	global_load_dword v4, v[4:5], off offset:24
	v_mov_b32_e32 v5, 0
	s_waitcnt vmcnt(0)
	v_and_b32_e32 v3, 0xffffff, v4
	v_readfirstlane_b32 m0, v3
	buffer_wbl2
	global_store_dwordx2 v[6:7], v[4:5], off
	s_sendmsg sendmsg(MSG_INTERRUPT)
.LBB4_17:
	s_or_b64 exec, exec, s[10:11]
	s_branch .LBB4_21
.LBB4_18:                               ;   in Loop: Header=BB4_21 Depth=1
	s_or_b64 exec, exec, s[10:11]
	v_readfirstlane_b32 s10, v3
	s_cmp_eq_u32 s10, 0
	s_cbranch_scc1 .LBB4_20
; %bb.19:                               ;   in Loop: Header=BB4_21 Depth=1
	s_sleep 1
	s_cbranch_execnz .LBB4_21
	s_branch .LBB4_23
.LBB4_20:
	s_branch .LBB4_23
.LBB4_21:                               ; =>This Inner Loop Header: Depth=1
	v_mov_b32_e32 v3, 1
	s_and_saveexec_b64 s[10:11], s[0:1]
	s_cbranch_execz .LBB4_18
; %bb.22:                               ;   in Loop: Header=BB4_21 Depth=1
	global_load_dword v3, v[0:1], off offset:20 glc
	s_waitcnt vmcnt(0)
	buffer_invl2
	buffer_wbinvl1_vol
	v_and_b32_e32 v3, 1, v3
	s_branch .LBB4_18
.LBB4_23:
	global_load_dwordx2 v[4:5], v[12:13], off
	s_and_saveexec_b64 s[10:11], s[0:1]
	s_cbranch_execz .LBB4_26
; %bb.24:
	v_mov_b32_e32 v3, 0
	global_load_dwordx2 v[0:1], v3, s[6:7] offset:40
	global_load_dwordx2 v[10:11], v3, s[6:7] offset:24 glc
	global_load_dwordx2 v[12:13], v3, s[6:7]
	v_mov_b32_e32 v7, s9
	s_mov_b64 s[0:1], 0
	s_waitcnt vmcnt(2)
	v_add_co_u32_e32 v9, vcc, 1, v0
	v_addc_co_u32_e32 v14, vcc, 0, v1, vcc
	v_add_co_u32_e32 v6, vcc, s8, v9
	v_addc_co_u32_e32 v7, vcc, v14, v7, vcc
	v_cmp_eq_u64_e32 vcc, 0, v[6:7]
	v_cndmask_b32_e32 v7, v7, v14, vcc
	v_cndmask_b32_e32 v6, v6, v9, vcc
	v_and_b32_e32 v1, v7, v1
	v_and_b32_e32 v0, v6, v0
	v_mul_lo_u32 v1, v1, 24
	v_mul_hi_u32 v9, v0, 24
	v_mul_lo_u32 v0, v0, 24
	v_add_u32_e32 v1, v9, v1
	s_waitcnt vmcnt(0)
	v_add_co_u32_e32 v0, vcc, v12, v0
	v_addc_co_u32_e32 v1, vcc, v13, v1, vcc
	v_mov_b32_e32 v8, v10
	global_store_dwordx2 v[0:1], v[10:11], off
	v_mov_b32_e32 v9, v11
	buffer_wbl2
	s_waitcnt vmcnt(0)
	global_atomic_cmpswap_x2 v[8:9], v3, v[6:9], s[6:7] offset:24 glc
	s_waitcnt vmcnt(0)
	v_cmp_ne_u64_e32 vcc, v[8:9], v[10:11]
	s_and_b64 exec, exec, vcc
	s_cbranch_execz .LBB4_26
.LBB4_25:                               ; =>This Inner Loop Header: Depth=1
	s_sleep 1
	global_store_dwordx2 v[0:1], v[8:9], off
	buffer_wbl2
	s_waitcnt vmcnt(0)
	global_atomic_cmpswap_x2 v[10:11], v3, v[6:9], s[6:7] offset:24 glc
	s_waitcnt vmcnt(0)
	v_cmp_eq_u64_e32 vcc, v[10:11], v[8:9]
	s_or_b64 s[0:1], vcc, s[0:1]
	v_pk_mov_b32 v[8:9], v[10:11], v[10:11] op_sel:[0,1]
	s_andn2_b64 exec, exec, s[0:1]
	s_cbranch_execnz .LBB4_25
.LBB4_26:
	s_or_b64 exec, exec, s[10:11]
	s_getpc_b64 s[8:9]
	s_add_u32 s8, s8, .str.3@rel32@lo+4
	s_addc_u32 s9, s9, .str.3@rel32@hi+12
	s_cmp_lg_u64 s[8:9], 0
	s_cbranch_scc0 .LBB4_111
; %bb.27:
	s_waitcnt vmcnt(0)
	v_and_b32_e32 v10, -3, v4
	v_mov_b32_e32 v11, v5
	s_mov_b64 s[10:11], 0x50
	v_mov_b32_e32 v1, 0
	v_mov_b32_e32 v8, 2
	;; [unrolled: 1-line block ×3, first 2 shown]
	s_branch .LBB4_29
.LBB4_28:                               ;   in Loop: Header=BB4_29 Depth=1
	s_or_b64 exec, exec, s[16:17]
	s_sub_u32 s10, s10, s12
	s_subb_u32 s11, s11, s13
	s_add_u32 s8, s8, s12
	s_addc_u32 s9, s9, s13
	s_cmp_lg_u64 s[10:11], 0
	s_cbranch_scc0 .LBB4_110
.LBB4_29:                               ; =>This Loop Header: Depth=1
                                        ;     Child Loop BB4_32 Depth 2
                                        ;     Child Loop BB4_39 Depth 2
	;; [unrolled: 1-line block ×11, first 2 shown]
	v_cmp_lt_u64_e64 s[0:1], s[10:11], 56
	s_and_b64 s[0:1], s[0:1], exec
	v_cmp_gt_u64_e64 s[0:1], s[10:11], 7
	s_cselect_b32 s13, s11, 0
	s_cselect_b32 s12, s10, 56
	s_and_b64 vcc, exec, s[0:1]
	s_cbranch_vccnz .LBB4_34
; %bb.30:                               ;   in Loop: Header=BB4_29 Depth=1
	s_mov_b64 s[0:1], 0
	s_cmp_eq_u64 s[10:11], 0
	s_waitcnt vmcnt(0)
	v_pk_mov_b32 v[12:13], 0, 0
	s_cbranch_scc1 .LBB4_33
; %bb.31:                               ;   in Loop: Header=BB4_29 Depth=1
	s_lshl_b64 s[14:15], s[12:13], 3
	s_mov_b64 s[16:17], 0
	v_pk_mov_b32 v[12:13], 0, 0
	s_mov_b64 s[18:19], s[8:9]
.LBB4_32:                               ;   Parent Loop BB4_29 Depth=1
                                        ; =>  This Inner Loop Header: Depth=2
	global_load_ubyte v0, v1, s[18:19]
	s_waitcnt vmcnt(0)
	v_and_b32_e32 v0, 0xffff, v0
	v_lshlrev_b64 v[6:7], s16, v[0:1]
	s_add_u32 s16, s16, 8
	s_addc_u32 s17, s17, 0
	s_add_u32 s18, s18, 1
	s_addc_u32 s19, s19, 0
	v_or_b32_e32 v12, v6, v12
	s_cmp_lg_u32 s14, s16
	v_or_b32_e32 v13, v7, v13
	s_cbranch_scc1 .LBB4_32
.LBB4_33:                               ;   in Loop: Header=BB4_29 Depth=1
	s_mov_b32 s18, 0
	s_andn2_b64 vcc, exec, s[0:1]
	s_mov_b64 s[0:1], s[8:9]
	s_cbranch_vccz .LBB4_35
	s_branch .LBB4_36
.LBB4_34:                               ;   in Loop: Header=BB4_29 Depth=1
                                        ; implicit-def: $sgpr18
	s_mov_b64 s[0:1], s[8:9]
.LBB4_35:                               ;   in Loop: Header=BB4_29 Depth=1
	global_load_dwordx2 v[12:13], v1, s[8:9]
	s_add_i32 s18, s12, -8
	s_add_u32 s0, s8, 8
	s_addc_u32 s1, s9, 0
.LBB4_36:                               ;   in Loop: Header=BB4_29 Depth=1
	s_cmp_gt_u32 s18, 7
	s_cbranch_scc1 .LBB4_40
; %bb.37:                               ;   in Loop: Header=BB4_29 Depth=1
	s_cmp_eq_u32 s18, 0
	s_cbranch_scc1 .LBB4_41
; %bb.38:                               ;   in Loop: Header=BB4_29 Depth=1
	s_mov_b64 s[14:15], 0
	v_pk_mov_b32 v[14:15], 0, 0
	s_mov_b64 s[16:17], 0
.LBB4_39:                               ;   Parent Loop BB4_29 Depth=1
                                        ; =>  This Inner Loop Header: Depth=2
	s_add_u32 s20, s0, s16
	s_addc_u32 s21, s1, s17
	global_load_ubyte v0, v1, s[20:21]
	s_add_u32 s16, s16, 1
	s_addc_u32 s17, s17, 0
	s_waitcnt vmcnt(0)
	v_and_b32_e32 v0, 0xffff, v0
	v_lshlrev_b64 v[6:7], s14, v[0:1]
	s_add_u32 s14, s14, 8
	s_addc_u32 s15, s15, 0
	v_or_b32_e32 v14, v6, v14
	s_cmp_lg_u32 s18, s16
	v_or_b32_e32 v15, v7, v15
	s_cbranch_scc1 .LBB4_39
	s_branch .LBB4_42
.LBB4_40:                               ;   in Loop: Header=BB4_29 Depth=1
                                        ; implicit-def: $vgpr14_vgpr15
                                        ; implicit-def: $sgpr19
	s_branch .LBB4_43
.LBB4_41:                               ;   in Loop: Header=BB4_29 Depth=1
	v_pk_mov_b32 v[14:15], 0, 0
.LBB4_42:                               ;   in Loop: Header=BB4_29 Depth=1
	s_mov_b32 s19, 0
	s_cbranch_execnz .LBB4_44
.LBB4_43:                               ;   in Loop: Header=BB4_29 Depth=1
	global_load_dwordx2 v[14:15], v1, s[0:1]
	s_add_i32 s19, s18, -8
	s_add_u32 s0, s0, 8
	s_addc_u32 s1, s1, 0
.LBB4_44:                               ;   in Loop: Header=BB4_29 Depth=1
	s_cmp_gt_u32 s19, 7
	s_cbranch_scc1 .LBB4_48
; %bb.45:                               ;   in Loop: Header=BB4_29 Depth=1
	s_cmp_eq_u32 s19, 0
	s_cbranch_scc1 .LBB4_49
; %bb.46:                               ;   in Loop: Header=BB4_29 Depth=1
	s_mov_b64 s[14:15], 0
	v_pk_mov_b32 v[16:17], 0, 0
	s_mov_b64 s[16:17], 0
.LBB4_47:                               ;   Parent Loop BB4_29 Depth=1
                                        ; =>  This Inner Loop Header: Depth=2
	s_add_u32 s20, s0, s16
	s_addc_u32 s21, s1, s17
	global_load_ubyte v0, v1, s[20:21]
	s_add_u32 s16, s16, 1
	s_addc_u32 s17, s17, 0
	s_waitcnt vmcnt(0)
	v_and_b32_e32 v0, 0xffff, v0
	v_lshlrev_b64 v[6:7], s14, v[0:1]
	s_add_u32 s14, s14, 8
	s_addc_u32 s15, s15, 0
	v_or_b32_e32 v16, v6, v16
	s_cmp_lg_u32 s19, s16
	v_or_b32_e32 v17, v7, v17
	s_cbranch_scc1 .LBB4_47
	s_branch .LBB4_50
.LBB4_48:                               ;   in Loop: Header=BB4_29 Depth=1
                                        ; implicit-def: $sgpr18
	s_branch .LBB4_51
.LBB4_49:                               ;   in Loop: Header=BB4_29 Depth=1
	v_pk_mov_b32 v[16:17], 0, 0
.LBB4_50:                               ;   in Loop: Header=BB4_29 Depth=1
	s_mov_b32 s18, 0
	s_cbranch_execnz .LBB4_52
.LBB4_51:                               ;   in Loop: Header=BB4_29 Depth=1
	global_load_dwordx2 v[16:17], v1, s[0:1]
	s_add_i32 s18, s19, -8
	s_add_u32 s0, s0, 8
	s_addc_u32 s1, s1, 0
.LBB4_52:                               ;   in Loop: Header=BB4_29 Depth=1
	s_cmp_gt_u32 s18, 7
	s_cbranch_scc1 .LBB4_56
; %bb.53:                               ;   in Loop: Header=BB4_29 Depth=1
	s_cmp_eq_u32 s18, 0
	s_cbranch_scc1 .LBB4_57
; %bb.54:                               ;   in Loop: Header=BB4_29 Depth=1
	s_mov_b64 s[14:15], 0
	v_pk_mov_b32 v[18:19], 0, 0
	s_mov_b64 s[16:17], 0
.LBB4_55:                               ;   Parent Loop BB4_29 Depth=1
                                        ; =>  This Inner Loop Header: Depth=2
	s_add_u32 s20, s0, s16
	s_addc_u32 s21, s1, s17
	global_load_ubyte v0, v1, s[20:21]
	s_add_u32 s16, s16, 1
	s_addc_u32 s17, s17, 0
	s_waitcnt vmcnt(0)
	v_and_b32_e32 v0, 0xffff, v0
	v_lshlrev_b64 v[6:7], s14, v[0:1]
	s_add_u32 s14, s14, 8
	s_addc_u32 s15, s15, 0
	v_or_b32_e32 v18, v6, v18
	s_cmp_lg_u32 s18, s16
	v_or_b32_e32 v19, v7, v19
	s_cbranch_scc1 .LBB4_55
	s_branch .LBB4_58
.LBB4_56:                               ;   in Loop: Header=BB4_29 Depth=1
                                        ; implicit-def: $vgpr18_vgpr19
                                        ; implicit-def: $sgpr19
	s_branch .LBB4_59
.LBB4_57:                               ;   in Loop: Header=BB4_29 Depth=1
	v_pk_mov_b32 v[18:19], 0, 0
.LBB4_58:                               ;   in Loop: Header=BB4_29 Depth=1
	s_mov_b32 s19, 0
	s_cbranch_execnz .LBB4_60
.LBB4_59:                               ;   in Loop: Header=BB4_29 Depth=1
	global_load_dwordx2 v[18:19], v1, s[0:1]
	s_add_i32 s19, s18, -8
	s_add_u32 s0, s0, 8
	s_addc_u32 s1, s1, 0
.LBB4_60:                               ;   in Loop: Header=BB4_29 Depth=1
	s_cmp_gt_u32 s19, 7
	s_cbranch_scc1 .LBB4_64
; %bb.61:                               ;   in Loop: Header=BB4_29 Depth=1
	s_cmp_eq_u32 s19, 0
	s_cbranch_scc1 .LBB4_65
; %bb.62:                               ;   in Loop: Header=BB4_29 Depth=1
	s_mov_b64 s[14:15], 0
	v_pk_mov_b32 v[20:21], 0, 0
	s_mov_b64 s[16:17], 0
.LBB4_63:                               ;   Parent Loop BB4_29 Depth=1
                                        ; =>  This Inner Loop Header: Depth=2
	s_add_u32 s20, s0, s16
	s_addc_u32 s21, s1, s17
	global_load_ubyte v0, v1, s[20:21]
	s_add_u32 s16, s16, 1
	s_addc_u32 s17, s17, 0
	s_waitcnt vmcnt(0)
	v_and_b32_e32 v0, 0xffff, v0
	v_lshlrev_b64 v[6:7], s14, v[0:1]
	s_add_u32 s14, s14, 8
	s_addc_u32 s15, s15, 0
	v_or_b32_e32 v20, v6, v20
	s_cmp_lg_u32 s19, s16
	v_or_b32_e32 v21, v7, v21
	s_cbranch_scc1 .LBB4_63
	s_branch .LBB4_66
.LBB4_64:                               ;   in Loop: Header=BB4_29 Depth=1
                                        ; implicit-def: $sgpr18
	s_branch .LBB4_67
.LBB4_65:                               ;   in Loop: Header=BB4_29 Depth=1
	v_pk_mov_b32 v[20:21], 0, 0
.LBB4_66:                               ;   in Loop: Header=BB4_29 Depth=1
	s_mov_b32 s18, 0
	s_cbranch_execnz .LBB4_68
.LBB4_67:                               ;   in Loop: Header=BB4_29 Depth=1
	global_load_dwordx2 v[20:21], v1, s[0:1]
	s_add_i32 s18, s19, -8
	s_add_u32 s0, s0, 8
	s_addc_u32 s1, s1, 0
.LBB4_68:                               ;   in Loop: Header=BB4_29 Depth=1
	s_cmp_gt_u32 s18, 7
	s_cbranch_scc1 .LBB4_72
; %bb.69:                               ;   in Loop: Header=BB4_29 Depth=1
	s_cmp_eq_u32 s18, 0
	s_cbranch_scc1 .LBB4_73
; %bb.70:                               ;   in Loop: Header=BB4_29 Depth=1
	s_mov_b64 s[14:15], 0
	v_pk_mov_b32 v[22:23], 0, 0
	s_mov_b64 s[16:17], 0
.LBB4_71:                               ;   Parent Loop BB4_29 Depth=1
                                        ; =>  This Inner Loop Header: Depth=2
	s_add_u32 s20, s0, s16
	s_addc_u32 s21, s1, s17
	global_load_ubyte v0, v1, s[20:21]
	s_add_u32 s16, s16, 1
	s_addc_u32 s17, s17, 0
	s_waitcnt vmcnt(0)
	v_and_b32_e32 v0, 0xffff, v0
	v_lshlrev_b64 v[6:7], s14, v[0:1]
	s_add_u32 s14, s14, 8
	s_addc_u32 s15, s15, 0
	v_or_b32_e32 v22, v6, v22
	s_cmp_lg_u32 s18, s16
	v_or_b32_e32 v23, v7, v23
	s_cbranch_scc1 .LBB4_71
	s_branch .LBB4_74
.LBB4_72:                               ;   in Loop: Header=BB4_29 Depth=1
                                        ; implicit-def: $vgpr22_vgpr23
                                        ; implicit-def: $sgpr19
	s_branch .LBB4_75
.LBB4_73:                               ;   in Loop: Header=BB4_29 Depth=1
	v_pk_mov_b32 v[22:23], 0, 0
.LBB4_74:                               ;   in Loop: Header=BB4_29 Depth=1
	s_mov_b32 s19, 0
	s_cbranch_execnz .LBB4_76
.LBB4_75:                               ;   in Loop: Header=BB4_29 Depth=1
	global_load_dwordx2 v[22:23], v1, s[0:1]
	s_add_i32 s19, s18, -8
	s_add_u32 s0, s0, 8
	s_addc_u32 s1, s1, 0
.LBB4_76:                               ;   in Loop: Header=BB4_29 Depth=1
	s_cmp_gt_u32 s19, 7
	s_cbranch_scc1 .LBB4_80
; %bb.77:                               ;   in Loop: Header=BB4_29 Depth=1
	s_cmp_eq_u32 s19, 0
	s_cbranch_scc1 .LBB4_81
; %bb.78:                               ;   in Loop: Header=BB4_29 Depth=1
	s_mov_b64 s[14:15], 0
	v_pk_mov_b32 v[24:25], 0, 0
	s_mov_b64 s[16:17], s[0:1]
.LBB4_79:                               ;   Parent Loop BB4_29 Depth=1
                                        ; =>  This Inner Loop Header: Depth=2
	global_load_ubyte v0, v1, s[16:17]
	s_add_i32 s19, s19, -1
	s_waitcnt vmcnt(0)
	v_and_b32_e32 v0, 0xffff, v0
	v_lshlrev_b64 v[6:7], s14, v[0:1]
	s_add_u32 s14, s14, 8
	s_addc_u32 s15, s15, 0
	s_add_u32 s16, s16, 1
	s_addc_u32 s17, s17, 0
	v_or_b32_e32 v24, v6, v24
	s_cmp_lg_u32 s19, 0
	v_or_b32_e32 v25, v7, v25
	s_cbranch_scc1 .LBB4_79
	s_branch .LBB4_82
.LBB4_80:                               ;   in Loop: Header=BB4_29 Depth=1
	s_branch .LBB4_83
.LBB4_81:                               ;   in Loop: Header=BB4_29 Depth=1
	v_pk_mov_b32 v[24:25], 0, 0
.LBB4_82:                               ;   in Loop: Header=BB4_29 Depth=1
	s_cbranch_execnz .LBB4_84
.LBB4_83:                               ;   in Loop: Header=BB4_29 Depth=1
	global_load_dwordx2 v[24:25], v1, s[0:1]
.LBB4_84:                               ;   in Loop: Header=BB4_29 Depth=1
	v_readfirstlane_b32 s0, v33
	v_cmp_eq_u32_e64 s[0:1], s0, v33
	v_pk_mov_b32 v[6:7], 0, 0
	s_and_saveexec_b64 s[14:15], s[0:1]
	s_cbranch_execz .LBB4_90
; %bb.85:                               ;   in Loop: Header=BB4_29 Depth=1
	global_load_dwordx2 v[28:29], v1, s[6:7] offset:24 glc
	s_waitcnt vmcnt(0)
	buffer_invl2
	buffer_wbinvl1_vol
	global_load_dwordx2 v[6:7], v1, s[6:7] offset:40
	global_load_dwordx2 v[26:27], v1, s[6:7]
	s_waitcnt vmcnt(1)
	v_and_b32_e32 v0, v6, v28
	v_and_b32_e32 v3, v7, v29
	v_mul_lo_u32 v3, v3, 24
	v_mul_hi_u32 v6, v0, 24
	v_mul_lo_u32 v0, v0, 24
	v_add_u32_e32 v3, v6, v3
	s_waitcnt vmcnt(0)
	v_add_co_u32_e32 v6, vcc, v26, v0
	v_addc_co_u32_e32 v7, vcc, v27, v3, vcc
	global_load_dwordx2 v[26:27], v[6:7], off glc
	s_waitcnt vmcnt(0)
	global_atomic_cmpswap_x2 v[6:7], v1, v[26:29], s[6:7] offset:24 glc
	s_waitcnt vmcnt(0)
	buffer_invl2
	buffer_wbinvl1_vol
	v_cmp_ne_u64_e32 vcc, v[6:7], v[28:29]
	s_and_saveexec_b64 s[16:17], vcc
	s_cbranch_execz .LBB4_89
; %bb.86:                               ;   in Loop: Header=BB4_29 Depth=1
	s_mov_b64 s[18:19], 0
.LBB4_87:                               ;   Parent Loop BB4_29 Depth=1
                                        ; =>  This Inner Loop Header: Depth=2
	s_sleep 1
	global_load_dwordx2 v[26:27], v1, s[6:7] offset:40
	global_load_dwordx2 v[30:31], v1, s[6:7]
	v_pk_mov_b32 v[28:29], v[6:7], v[6:7] op_sel:[0,1]
	s_waitcnt vmcnt(1)
	v_and_b32_e32 v0, v26, v28
	s_waitcnt vmcnt(0)
	v_mad_u64_u32 v[6:7], s[20:21], v0, 24, v[30:31]
	v_and_b32_e32 v3, v27, v29
	v_mov_b32_e32 v0, v7
	v_mad_u64_u32 v[26:27], s[20:21], v3, 24, v[0:1]
	v_mov_b32_e32 v7, v26
	global_load_dwordx2 v[26:27], v[6:7], off glc
	s_waitcnt vmcnt(0)
	global_atomic_cmpswap_x2 v[6:7], v1, v[26:29], s[6:7] offset:24 glc
	s_waitcnt vmcnt(0)
	buffer_invl2
	buffer_wbinvl1_vol
	v_cmp_eq_u64_e32 vcc, v[6:7], v[28:29]
	s_or_b64 s[18:19], vcc, s[18:19]
	s_andn2_b64 exec, exec, s[18:19]
	s_cbranch_execnz .LBB4_87
; %bb.88:                               ;   in Loop: Header=BB4_29 Depth=1
	s_or_b64 exec, exec, s[18:19]
.LBB4_89:                               ;   in Loop: Header=BB4_29 Depth=1
	s_or_b64 exec, exec, s[16:17]
.LBB4_90:                               ;   in Loop: Header=BB4_29 Depth=1
	s_or_b64 exec, exec, s[14:15]
	global_load_dwordx2 v[30:31], v1, s[6:7] offset:40
	global_load_dwordx4 v[26:29], v1, s[6:7]
	v_readfirstlane_b32 s14, v6
	v_readfirstlane_b32 s15, v7
	s_mov_b64 s[16:17], exec
	s_waitcnt vmcnt(1)
	v_readfirstlane_b32 s18, v30
	v_readfirstlane_b32 s19, v31
	s_and_b64 s[18:19], s[14:15], s[18:19]
	s_mul_i32 s20, s19, 24
	s_mul_hi_u32 s21, s18, 24
	s_mul_i32 s22, s18, 24
	s_add_i32 s20, s21, s20
	v_mov_b32_e32 v0, s20
	s_waitcnt vmcnt(0)
	v_add_co_u32_e32 v30, vcc, s22, v26
	v_addc_co_u32_e32 v31, vcc, v27, v0, vcc
	s_and_saveexec_b64 s[20:21], s[0:1]
	s_cbranch_execz .LBB4_92
; %bb.91:                               ;   in Loop: Header=BB4_29 Depth=1
	v_pk_mov_b32 v[6:7], s[16:17], s[16:17] op_sel:[0,1]
	global_store_dwordx4 v[30:31], v[6:9], off offset:8
.LBB4_92:                               ;   in Loop: Header=BB4_29 Depth=1
	s_or_b64 exec, exec, s[20:21]
	s_lshl_b64 s[16:17], s[18:19], 12
	v_mov_b32_e32 v0, s17
	v_add_co_u32_e32 v6, vcc, s16, v28
	v_addc_co_u32_e32 v3, vcc, v29, v0, vcc
	v_or_b32_e32 v0, 2, v10
	v_cmp_gt_u64_e64 vcc, s[10:11], 56
	s_lshl_b32 s16, s12, 2
	v_cndmask_b32_e32 v0, v0, v10, vcc
	s_add_i32 s16, s16, 28
	s_and_b32 s16, s16, 0x1e0
	v_and_b32_e32 v0, 0xffffff1f, v0
	v_or_b32_e32 v10, s16, v0
	v_readfirstlane_b32 s16, v6
	v_readfirstlane_b32 s17, v3
	s_nop 4
	global_store_dwordx4 v32, v[10:13], s[16:17]
	global_store_dwordx4 v32, v[14:17], s[16:17] offset:16
	global_store_dwordx4 v32, v[18:21], s[16:17] offset:32
	global_store_dwordx4 v32, v[22:25], s[16:17] offset:48
	s_and_saveexec_b64 s[16:17], s[0:1]
	s_cbranch_execz .LBB4_100
; %bb.93:                               ;   in Loop: Header=BB4_29 Depth=1
	global_load_dwordx2 v[18:19], v1, s[6:7] offset:32 glc
	global_load_dwordx2 v[10:11], v1, s[6:7] offset:40
	v_mov_b32_e32 v16, s14
	v_mov_b32_e32 v17, s15
	s_waitcnt vmcnt(0)
	v_readfirstlane_b32 s18, v10
	v_readfirstlane_b32 s19, v11
	s_and_b64 s[18:19], s[18:19], s[14:15]
	s_mul_i32 s19, s19, 24
	s_mul_hi_u32 s20, s18, 24
	s_mul_i32 s18, s18, 24
	s_add_i32 s19, s20, s19
	v_mov_b32_e32 v0, s19
	v_add_co_u32_e32 v14, vcc, s18, v26
	v_addc_co_u32_e32 v15, vcc, v27, v0, vcc
	global_store_dwordx2 v[14:15], v[18:19], off
	buffer_wbl2
	s_waitcnt vmcnt(0)
	global_atomic_cmpswap_x2 v[12:13], v1, v[16:19], s[6:7] offset:32 glc
	s_waitcnt vmcnt(0)
	v_cmp_ne_u64_e32 vcc, v[12:13], v[18:19]
	s_and_saveexec_b64 s[18:19], vcc
	s_cbranch_execz .LBB4_96
; %bb.94:                               ;   in Loop: Header=BB4_29 Depth=1
	s_mov_b64 s[20:21], 0
.LBB4_95:                               ;   Parent Loop BB4_29 Depth=1
                                        ; =>  This Inner Loop Header: Depth=2
	s_sleep 1
	global_store_dwordx2 v[14:15], v[12:13], off
	v_mov_b32_e32 v10, s14
	v_mov_b32_e32 v11, s15
	buffer_wbl2
	s_waitcnt vmcnt(0)
	global_atomic_cmpswap_x2 v[10:11], v1, v[10:13], s[6:7] offset:32 glc
	s_waitcnt vmcnt(0)
	v_cmp_eq_u64_e32 vcc, v[10:11], v[12:13]
	s_or_b64 s[20:21], vcc, s[20:21]
	v_pk_mov_b32 v[12:13], v[10:11], v[10:11] op_sel:[0,1]
	s_andn2_b64 exec, exec, s[20:21]
	s_cbranch_execnz .LBB4_95
.LBB4_96:                               ;   in Loop: Header=BB4_29 Depth=1
	s_or_b64 exec, exec, s[18:19]
	global_load_dwordx2 v[10:11], v1, s[6:7] offset:16
	s_mov_b64 s[20:21], exec
	v_mbcnt_lo_u32_b32 v0, s20, 0
	v_mbcnt_hi_u32_b32 v0, s21, v0
	v_cmp_eq_u32_e32 vcc, 0, v0
	s_and_saveexec_b64 s[18:19], vcc
	s_cbranch_execz .LBB4_98
; %bb.97:                               ;   in Loop: Header=BB4_29 Depth=1
	s_bcnt1_i32_b64 s20, s[20:21]
	v_mov_b32_e32 v0, s20
	buffer_wbl2
	s_waitcnt vmcnt(0)
	global_atomic_add_x2 v[10:11], v[0:1], off offset:8
.LBB4_98:                               ;   in Loop: Header=BB4_29 Depth=1
	s_or_b64 exec, exec, s[18:19]
	s_waitcnt vmcnt(0)
	global_load_dwordx2 v[12:13], v[10:11], off offset:16
	s_waitcnt vmcnt(0)
	v_cmp_eq_u64_e32 vcc, 0, v[12:13]
	s_cbranch_vccnz .LBB4_100
; %bb.99:                               ;   in Loop: Header=BB4_29 Depth=1
	global_load_dword v0, v[10:11], off offset:24
	buffer_wbl2
	s_waitcnt vmcnt(0)
	global_store_dwordx2 v[12:13], v[0:1], off
	v_and_b32_e32 v0, 0xffffff, v0
	v_readfirstlane_b32 m0, v0
	s_sendmsg sendmsg(MSG_INTERRUPT)
.LBB4_100:                              ;   in Loop: Header=BB4_29 Depth=1
	s_or_b64 exec, exec, s[16:17]
	v_add_co_u32_e32 v6, vcc, v6, v32
	v_addc_co_u32_e32 v7, vcc, 0, v3, vcc
	s_branch .LBB4_104
.LBB4_101:                              ;   in Loop: Header=BB4_104 Depth=2
	s_or_b64 exec, exec, s[16:17]
	v_readfirstlane_b32 s16, v0
	s_cmp_eq_u32 s16, 0
	s_cbranch_scc1 .LBB4_103
; %bb.102:                              ;   in Loop: Header=BB4_104 Depth=2
	s_sleep 1
	s_cbranch_execnz .LBB4_104
	s_branch .LBB4_106
.LBB4_103:                              ;   in Loop: Header=BB4_29 Depth=1
	s_branch .LBB4_106
.LBB4_104:                              ;   Parent Loop BB4_29 Depth=1
                                        ; =>  This Inner Loop Header: Depth=2
	v_mov_b32_e32 v0, 1
	s_and_saveexec_b64 s[16:17], s[0:1]
	s_cbranch_execz .LBB4_101
; %bb.105:                              ;   in Loop: Header=BB4_104 Depth=2
	global_load_dword v0, v[30:31], off offset:20 glc
	s_waitcnt vmcnt(0)
	buffer_invl2
	buffer_wbinvl1_vol
	v_and_b32_e32 v0, 1, v0
	s_branch .LBB4_101
.LBB4_106:                              ;   in Loop: Header=BB4_29 Depth=1
	global_load_dwordx4 v[10:13], v[6:7], off
	s_and_saveexec_b64 s[16:17], s[0:1]
	s_cbranch_execz .LBB4_28
; %bb.107:                              ;   in Loop: Header=BB4_29 Depth=1
	global_load_dwordx2 v[6:7], v1, s[6:7] offset:40
	global_load_dwordx2 v[16:17], v1, s[6:7] offset:24 glc
	global_load_dwordx2 v[18:19], v1, s[6:7]
	v_mov_b32_e32 v0, s15
	s_waitcnt vmcnt(2)
	v_add_co_u32_e32 v3, vcc, 1, v6
	v_addc_co_u32_e32 v15, vcc, 0, v7, vcc
	v_add_co_u32_e32 v12, vcc, s14, v3
	v_addc_co_u32_e32 v13, vcc, v15, v0, vcc
	v_cmp_eq_u64_e32 vcc, 0, v[12:13]
	v_cndmask_b32_e32 v13, v13, v15, vcc
	v_cndmask_b32_e32 v12, v12, v3, vcc
	v_and_b32_e32 v0, v13, v7
	v_and_b32_e32 v3, v12, v6
	v_mul_lo_u32 v0, v0, 24
	v_mul_hi_u32 v6, v3, 24
	v_mul_lo_u32 v3, v3, 24
	v_add_u32_e32 v0, v6, v0
	s_waitcnt vmcnt(0)
	v_add_co_u32_e32 v6, vcc, v18, v3
	v_addc_co_u32_e32 v7, vcc, v19, v0, vcc
	v_mov_b32_e32 v14, v16
	global_store_dwordx2 v[6:7], v[16:17], off
	v_mov_b32_e32 v15, v17
	buffer_wbl2
	s_waitcnt vmcnt(0)
	global_atomic_cmpswap_x2 v[14:15], v1, v[12:15], s[6:7] offset:24 glc
	s_waitcnt vmcnt(0)
	v_cmp_ne_u64_e32 vcc, v[14:15], v[16:17]
	s_and_b64 exec, exec, vcc
	s_cbranch_execz .LBB4_28
; %bb.108:                              ;   in Loop: Header=BB4_29 Depth=1
	s_mov_b64 s[0:1], 0
.LBB4_109:                              ;   Parent Loop BB4_29 Depth=1
                                        ; =>  This Inner Loop Header: Depth=2
	s_sleep 1
	global_store_dwordx2 v[6:7], v[14:15], off
	buffer_wbl2
	s_waitcnt vmcnt(0)
	global_atomic_cmpswap_x2 v[16:17], v1, v[12:15], s[6:7] offset:24 glc
	s_waitcnt vmcnt(0)
	v_cmp_eq_u64_e32 vcc, v[16:17], v[14:15]
	s_or_b64 s[0:1], vcc, s[0:1]
	v_pk_mov_b32 v[14:15], v[16:17], v[16:17] op_sel:[0,1]
	s_andn2_b64 exec, exec, s[0:1]
	s_cbranch_execnz .LBB4_109
	s_branch .LBB4_28
.LBB4_110:
	s_branch .LBB4_137
.LBB4_111:
	s_cbranch_execz .LBB4_137
; %bb.112:
	v_readfirstlane_b32 s0, v33
	v_cmp_eq_u32_e64 s[0:1], s0, v33
	v_pk_mov_b32 v[0:1], 0, 0
	s_and_saveexec_b64 s[8:9], s[0:1]
	s_cbranch_execz .LBB4_118
; %bb.113:
	v_mov_b32_e32 v3, 0
	global_load_dwordx2 v[8:9], v3, s[6:7] offset:24 glc
	s_waitcnt vmcnt(0)
	buffer_invl2
	buffer_wbinvl1_vol
	global_load_dwordx2 v[0:1], v3, s[6:7] offset:40
	global_load_dwordx2 v[6:7], v3, s[6:7]
	s_waitcnt vmcnt(1)
	v_and_b32_e32 v0, v0, v8
	v_and_b32_e32 v1, v1, v9
	v_mul_lo_u32 v1, v1, 24
	v_mul_hi_u32 v10, v0, 24
	v_mul_lo_u32 v0, v0, 24
	v_add_u32_e32 v1, v10, v1
	s_waitcnt vmcnt(0)
	v_add_co_u32_e32 v0, vcc, v6, v0
	v_addc_co_u32_e32 v1, vcc, v7, v1, vcc
	global_load_dwordx2 v[6:7], v[0:1], off glc
	s_waitcnt vmcnt(0)
	global_atomic_cmpswap_x2 v[0:1], v3, v[6:9], s[6:7] offset:24 glc
	s_waitcnt vmcnt(0)
	buffer_invl2
	buffer_wbinvl1_vol
	v_cmp_ne_u64_e32 vcc, v[0:1], v[8:9]
	s_and_saveexec_b64 s[10:11], vcc
	s_cbranch_execz .LBB4_117
; %bb.114:
	s_mov_b64 s[12:13], 0
.LBB4_115:                              ; =>This Inner Loop Header: Depth=1
	s_sleep 1
	global_load_dwordx2 v[6:7], v3, s[6:7] offset:40
	global_load_dwordx2 v[10:11], v3, s[6:7]
	v_pk_mov_b32 v[8:9], v[0:1], v[0:1] op_sel:[0,1]
	s_waitcnt vmcnt(1)
	v_and_b32_e32 v0, v6, v8
	s_waitcnt vmcnt(0)
	v_mad_u64_u32 v[0:1], s[14:15], v0, 24, v[10:11]
	v_and_b32_e32 v7, v7, v9
	v_mov_b32_e32 v6, v1
	v_mad_u64_u32 v[6:7], s[14:15], v7, 24, v[6:7]
	v_mov_b32_e32 v1, v6
	global_load_dwordx2 v[6:7], v[0:1], off glc
	s_waitcnt vmcnt(0)
	global_atomic_cmpswap_x2 v[0:1], v3, v[6:9], s[6:7] offset:24 glc
	s_waitcnt vmcnt(0)
	buffer_invl2
	buffer_wbinvl1_vol
	v_cmp_eq_u64_e32 vcc, v[0:1], v[8:9]
	s_or_b64 s[12:13], vcc, s[12:13]
	s_andn2_b64 exec, exec, s[12:13]
	s_cbranch_execnz .LBB4_115
; %bb.116:
	s_or_b64 exec, exec, s[12:13]
.LBB4_117:
	s_or_b64 exec, exec, s[10:11]
.LBB4_118:
	s_or_b64 exec, exec, s[8:9]
	v_mov_b32_e32 v6, 0
	global_load_dwordx2 v[12:13], v6, s[6:7] offset:40
	global_load_dwordx4 v[8:11], v6, s[6:7]
	v_readfirstlane_b32 s8, v0
	v_readfirstlane_b32 s9, v1
	s_mov_b64 s[10:11], exec
	s_waitcnt vmcnt(1)
	v_readfirstlane_b32 s12, v12
	v_readfirstlane_b32 s13, v13
	s_and_b64 s[12:13], s[8:9], s[12:13]
	s_mul_i32 s14, s13, 24
	s_mul_hi_u32 s15, s12, 24
	s_mul_i32 s16, s12, 24
	s_add_i32 s14, s15, s14
	v_mov_b32_e32 v1, s14
	s_waitcnt vmcnt(0)
	v_add_co_u32_e32 v0, vcc, s16, v8
	v_addc_co_u32_e32 v1, vcc, v9, v1, vcc
	s_and_saveexec_b64 s[14:15], s[0:1]
	s_cbranch_execz .LBB4_120
; %bb.119:
	v_pk_mov_b32 v[12:13], s[10:11], s[10:11] op_sel:[0,1]
	v_mov_b32_e32 v14, 2
	v_mov_b32_e32 v15, 1
	global_store_dwordx4 v[0:1], v[12:15], off offset:8
.LBB4_120:
	s_or_b64 exec, exec, s[14:15]
	s_lshl_b64 s[10:11], s[12:13], 12
	v_mov_b32_e32 v3, s11
	v_add_co_u32_e32 v10, vcc, s10, v10
	v_addc_co_u32_e32 v3, vcc, v11, v3, vcc
	s_movk_i32 s10, 0xff1d
	s_mov_b32 s12, 0
	v_and_or_b32 v4, v4, s10, 34
	v_mov_b32_e32 v7, v6
	v_readfirstlane_b32 s10, v10
	v_readfirstlane_b32 s11, v3
	s_mov_b32 s13, s12
	s_mov_b32 s14, s12
	;; [unrolled: 1-line block ×3, first 2 shown]
	s_nop 1
	global_store_dwordx4 v32, v[4:7], s[10:11]
	s_nop 0
	v_pk_mov_b32 v[4:5], s[12:13], s[12:13] op_sel:[0,1]
	v_pk_mov_b32 v[6:7], s[14:15], s[14:15] op_sel:[0,1]
	global_store_dwordx4 v32, v[4:7], s[10:11] offset:16
	global_store_dwordx4 v32, v[4:7], s[10:11] offset:32
	;; [unrolled: 1-line block ×3, first 2 shown]
	s_and_saveexec_b64 s[10:11], s[0:1]
	s_cbranch_execz .LBB4_128
; %bb.121:
	v_mov_b32_e32 v3, 0
	global_load_dwordx2 v[12:13], v3, s[6:7] offset:32 glc
	global_load_dwordx2 v[4:5], v3, s[6:7] offset:40
	v_mov_b32_e32 v10, s8
	v_mov_b32_e32 v11, s9
	s_waitcnt vmcnt(0)
	v_readfirstlane_b32 s12, v4
	v_readfirstlane_b32 s13, v5
	s_and_b64 s[12:13], s[12:13], s[8:9]
	s_mul_i32 s13, s13, 24
	s_mul_hi_u32 s14, s12, 24
	s_mul_i32 s12, s12, 24
	s_add_i32 s13, s14, s13
	v_mov_b32_e32 v4, s13
	v_add_co_u32_e32 v8, vcc, s12, v8
	v_addc_co_u32_e32 v9, vcc, v9, v4, vcc
	global_store_dwordx2 v[8:9], v[12:13], off
	buffer_wbl2
	s_waitcnt vmcnt(0)
	global_atomic_cmpswap_x2 v[6:7], v3, v[10:13], s[6:7] offset:32 glc
	s_waitcnt vmcnt(0)
	v_cmp_ne_u64_e32 vcc, v[6:7], v[12:13]
	s_and_saveexec_b64 s[12:13], vcc
	s_cbranch_execz .LBB4_124
; %bb.122:
	s_mov_b64 s[14:15], 0
.LBB4_123:                              ; =>This Inner Loop Header: Depth=1
	s_sleep 1
	global_store_dwordx2 v[8:9], v[6:7], off
	v_mov_b32_e32 v4, s8
	v_mov_b32_e32 v5, s9
	buffer_wbl2
	s_waitcnt vmcnt(0)
	global_atomic_cmpswap_x2 v[4:5], v3, v[4:7], s[6:7] offset:32 glc
	s_waitcnt vmcnt(0)
	v_cmp_eq_u64_e32 vcc, v[4:5], v[6:7]
	s_or_b64 s[14:15], vcc, s[14:15]
	v_pk_mov_b32 v[6:7], v[4:5], v[4:5] op_sel:[0,1]
	s_andn2_b64 exec, exec, s[14:15]
	s_cbranch_execnz .LBB4_123
.LBB4_124:
	s_or_b64 exec, exec, s[12:13]
	v_mov_b32_e32 v7, 0
	global_load_dwordx2 v[4:5], v7, s[6:7] offset:16
	s_mov_b64 s[12:13], exec
	v_mbcnt_lo_u32_b32 v3, s12, 0
	v_mbcnt_hi_u32_b32 v3, s13, v3
	v_cmp_eq_u32_e32 vcc, 0, v3
	s_and_saveexec_b64 s[14:15], vcc
	s_cbranch_execz .LBB4_126
; %bb.125:
	s_bcnt1_i32_b64 s12, s[12:13]
	v_mov_b32_e32 v6, s12
	buffer_wbl2
	s_waitcnt vmcnt(0)
	global_atomic_add_x2 v[4:5], v[6:7], off offset:8
.LBB4_126:
	s_or_b64 exec, exec, s[14:15]
	s_waitcnt vmcnt(0)
	global_load_dwordx2 v[6:7], v[4:5], off offset:16
	s_waitcnt vmcnt(0)
	v_cmp_eq_u64_e32 vcc, 0, v[6:7]
	s_cbranch_vccnz .LBB4_128
; %bb.127:
	global_load_dword v4, v[4:5], off offset:24
	v_mov_b32_e32 v5, 0
	s_waitcnt vmcnt(0)
	v_and_b32_e32 v3, 0xffffff, v4
	v_readfirstlane_b32 m0, v3
	buffer_wbl2
	global_store_dwordx2 v[6:7], v[4:5], off
	s_sendmsg sendmsg(MSG_INTERRUPT)
.LBB4_128:
	s_or_b64 exec, exec, s[10:11]
	s_branch .LBB4_132
.LBB4_129:                              ;   in Loop: Header=BB4_132 Depth=1
	s_or_b64 exec, exec, s[10:11]
	v_readfirstlane_b32 s10, v3
	s_cmp_eq_u32 s10, 0
	s_cbranch_scc1 .LBB4_131
; %bb.130:                              ;   in Loop: Header=BB4_132 Depth=1
	s_sleep 1
	s_cbranch_execnz .LBB4_132
	s_branch .LBB4_134
.LBB4_131:
	s_branch .LBB4_134
.LBB4_132:                              ; =>This Inner Loop Header: Depth=1
	v_mov_b32_e32 v3, 1
	s_and_saveexec_b64 s[10:11], s[0:1]
	s_cbranch_execz .LBB4_129
; %bb.133:                              ;   in Loop: Header=BB4_132 Depth=1
	global_load_dword v3, v[0:1], off offset:20 glc
	s_waitcnt vmcnt(0)
	buffer_invl2
	buffer_wbinvl1_vol
	v_and_b32_e32 v3, 1, v3
	s_branch .LBB4_129
.LBB4_134:
	s_and_b64 exec, exec, s[0:1]
	s_cbranch_execz .LBB4_137
; %bb.135:
	v_mov_b32_e32 v3, 0
	global_load_dwordx2 v[0:1], v3, s[6:7] offset:40
	global_load_dwordx2 v[8:9], v3, s[6:7] offset:24 glc
	global_load_dwordx2 v[10:11], v3, s[6:7]
	v_mov_b32_e32 v5, s9
	s_mov_b64 s[0:1], 0
	s_waitcnt vmcnt(2)
	v_add_co_u32_e32 v7, vcc, 1, v0
	v_addc_co_u32_e32 v12, vcc, 0, v1, vcc
	v_add_co_u32_e32 v4, vcc, s8, v7
	v_addc_co_u32_e32 v5, vcc, v12, v5, vcc
	v_cmp_eq_u64_e32 vcc, 0, v[4:5]
	v_cndmask_b32_e32 v5, v5, v12, vcc
	v_cndmask_b32_e32 v4, v4, v7, vcc
	v_and_b32_e32 v1, v5, v1
	v_and_b32_e32 v0, v4, v0
	v_mul_lo_u32 v1, v1, 24
	v_mul_hi_u32 v7, v0, 24
	v_mul_lo_u32 v0, v0, 24
	v_add_u32_e32 v1, v7, v1
	s_waitcnt vmcnt(0)
	v_add_co_u32_e32 v0, vcc, v10, v0
	v_addc_co_u32_e32 v1, vcc, v11, v1, vcc
	v_mov_b32_e32 v6, v8
	global_store_dwordx2 v[0:1], v[8:9], off
	v_mov_b32_e32 v7, v9
	buffer_wbl2
	s_waitcnt vmcnt(0)
	global_atomic_cmpswap_x2 v[6:7], v3, v[4:7], s[6:7] offset:24 glc
	s_waitcnt vmcnt(0)
	v_cmp_ne_u64_e32 vcc, v[6:7], v[8:9]
	s_and_b64 exec, exec, vcc
	s_cbranch_execz .LBB4_137
.LBB4_136:                              ; =>This Inner Loop Header: Depth=1
	s_sleep 1
	global_store_dwordx2 v[0:1], v[6:7], off
	buffer_wbl2
	s_waitcnt vmcnt(0)
	global_atomic_cmpswap_x2 v[8:9], v3, v[4:7], s[6:7] offset:24 glc
	s_waitcnt vmcnt(0)
	v_cmp_eq_u64_e32 vcc, v[8:9], v[6:7]
	s_or_b64 s[0:1], vcc, s[0:1]
	v_pk_mov_b32 v[6:7], v[8:9], v[8:9] op_sel:[0,1]
	s_andn2_b64 exec, exec, s[0:1]
	s_cbranch_execnz .LBB4_136
.LBB4_137:
	s_or_b64 exec, exec, s[2:3]
	v_and_b32_e32 v0, 1, v2
	v_cmp_eq_u32_e32 vcc, 1, v0
	s_waitcnt lgkmcnt(0)
	s_barrier
	s_and_saveexec_b64 s[0:1], vcc
	s_xor_b64 s[2:3], exec, s[0:1]
	s_cbranch_execz .LBB4_327
; %bb.138:
	s_mov_b64 s[10:11], exec
	v_mbcnt_lo_u32_b32 v0, s10, 0
	v_mbcnt_hi_u32_b32 v0, s11, v0
	v_cmp_eq_u32_e32 vcc, 0, v0
	s_and_saveexec_b64 s[6:7], vcc
	s_cbranch_execz .LBB4_326
; %bb.139:
	s_load_dwordx2 s[8:9], s[4:5], 0x50
	v_mbcnt_lo_u32_b32 v0, -1, 0
	v_mbcnt_hi_u32_b32 v3, -1, v0
	v_readfirstlane_b32 s0, v3
	v_cmp_eq_u32_e64 s[0:1], s0, v3
	v_pk_mov_b32 v[0:1], 0, 0
	s_and_saveexec_b64 s[12:13], s[0:1]
	s_cbranch_execz .LBB4_145
; %bb.140:
	s_waitcnt vmcnt(0)
	v_mov_b32_e32 v4, 0
	s_waitcnt lgkmcnt(0)
	global_load_dwordx2 v[8:9], v4, s[8:9] offset:24 glc
	s_waitcnt vmcnt(0)
	buffer_invl2
	buffer_wbinvl1_vol
	global_load_dwordx2 v[0:1], v4, s[8:9] offset:40
	global_load_dwordx2 v[6:7], v4, s[8:9]
	s_waitcnt vmcnt(1)
	v_and_b32_e32 v0, v0, v8
	v_and_b32_e32 v1, v1, v9
	v_mul_lo_u32 v1, v1, 24
	v_mul_hi_u32 v5, v0, 24
	v_mul_lo_u32 v0, v0, 24
	v_add_u32_e32 v1, v5, v1
	s_waitcnt vmcnt(0)
	v_add_co_u32_e32 v0, vcc, v6, v0
	v_addc_co_u32_e32 v1, vcc, v7, v1, vcc
	global_load_dwordx2 v[6:7], v[0:1], off glc
	s_waitcnt vmcnt(0)
	global_atomic_cmpswap_x2 v[0:1], v4, v[6:9], s[8:9] offset:24 glc
	s_waitcnt vmcnt(0)
	buffer_invl2
	buffer_wbinvl1_vol
	v_cmp_ne_u64_e32 vcc, v[0:1], v[8:9]
	s_and_saveexec_b64 s[14:15], vcc
	s_cbranch_execz .LBB4_144
; %bb.141:
	s_mov_b64 s[16:17], 0
.LBB4_142:                              ; =>This Inner Loop Header: Depth=1
	s_sleep 1
	global_load_dwordx2 v[6:7], v4, s[8:9] offset:40
	global_load_dwordx2 v[10:11], v4, s[8:9]
	v_pk_mov_b32 v[8:9], v[0:1], v[0:1] op_sel:[0,1]
	s_waitcnt vmcnt(1)
	v_and_b32_e32 v0, v6, v8
	s_waitcnt vmcnt(0)
	v_mad_u64_u32 v[0:1], s[18:19], v0, 24, v[10:11]
	v_and_b32_e32 v5, v7, v9
	v_mov_b32_e32 v6, v1
	v_mad_u64_u32 v[6:7], s[18:19], v5, 24, v[6:7]
	v_mov_b32_e32 v1, v6
	global_load_dwordx2 v[6:7], v[0:1], off glc
	s_waitcnt vmcnt(0)
	global_atomic_cmpswap_x2 v[0:1], v4, v[6:9], s[8:9] offset:24 glc
	s_waitcnt vmcnt(0)
	buffer_invl2
	buffer_wbinvl1_vol
	v_cmp_eq_u64_e32 vcc, v[0:1], v[8:9]
	s_or_b64 s[16:17], vcc, s[16:17]
	s_andn2_b64 exec, exec, s[16:17]
	s_cbranch_execnz .LBB4_142
; %bb.143:
	s_or_b64 exec, exec, s[16:17]
.LBB4_144:
	s_or_b64 exec, exec, s[14:15]
.LBB4_145:
	s_or_b64 exec, exec, s[12:13]
	v_mov_b32_e32 v9, 0
	s_waitcnt lgkmcnt(0)
	global_load_dwordx2 v[10:11], v9, s[8:9] offset:40
	global_load_dwordx4 v[4:7], v9, s[8:9]
	v_readfirstlane_b32 s12, v0
	v_readfirstlane_b32 s13, v1
	s_mov_b64 s[14:15], exec
	s_waitcnt vmcnt(1)
	v_readfirstlane_b32 s16, v10
	v_readfirstlane_b32 s17, v11
	s_and_b64 s[16:17], s[12:13], s[16:17]
	s_mul_i32 s18, s17, 24
	s_mul_hi_u32 s19, s16, 24
	s_mul_i32 s20, s16, 24
	s_add_i32 s18, s19, s18
	v_mov_b32_e32 v1, s18
	s_waitcnt vmcnt(0)
	v_add_co_u32_e32 v0, vcc, s20, v4
	v_addc_co_u32_e32 v1, vcc, v5, v1, vcc
	s_and_saveexec_b64 s[18:19], s[0:1]
	s_cbranch_execz .LBB4_147
; %bb.146:
	v_pk_mov_b32 v[10:11], s[14:15], s[14:15] op_sel:[0,1]
	v_mov_b32_e32 v12, 2
	v_mov_b32_e32 v13, 1
	global_store_dwordx4 v[0:1], v[10:13], off offset:8
.LBB4_147:
	s_or_b64 exec, exec, s[18:19]
	s_lshl_b64 s[14:15], s[16:17], 12
	v_mov_b32_e32 v8, s15
	v_add_co_u32_e32 v6, vcc, s14, v6
	v_addc_co_u32_e32 v7, vcc, v7, v8, vcc
	s_mov_b32 s16, 0
	v_lshlrev_b32_e32 v36, 6, v3
	v_add_co_u32_e32 v12, vcc, v6, v36
	v_mov_b32_e32 v8, 33
	v_mov_b32_e32 v10, v9
	;; [unrolled: 1-line block ×3, first 2 shown]
	v_readfirstlane_b32 s14, v6
	v_readfirstlane_b32 s15, v7
	s_mov_b32 s17, s16
	v_addc_co_u32_e32 v13, vcc, 0, v7, vcc
	s_mov_b32 s18, s16
	s_mov_b32 s19, s16
	s_nop 0
	global_store_dwordx4 v36, v[8:11], s[14:15]
	v_pk_mov_b32 v[6:7], s[16:17], s[16:17] op_sel:[0,1]
	v_pk_mov_b32 v[8:9], s[18:19], s[18:19] op_sel:[0,1]
	global_store_dwordx4 v36, v[6:9], s[14:15] offset:16
	global_store_dwordx4 v36, v[6:9], s[14:15] offset:32
	global_store_dwordx4 v36, v[6:9], s[14:15] offset:48
	s_and_saveexec_b64 s[14:15], s[0:1]
	s_cbranch_execz .LBB4_155
; %bb.148:
	v_mov_b32_e32 v10, 0
	global_load_dwordx2 v[16:17], v10, s[8:9] offset:32 glc
	global_load_dwordx2 v[6:7], v10, s[8:9] offset:40
	v_mov_b32_e32 v14, s12
	v_mov_b32_e32 v15, s13
	s_waitcnt vmcnt(0)
	v_and_b32_e32 v6, s12, v6
	v_and_b32_e32 v7, s13, v7
	v_mul_lo_u32 v7, v7, 24
	v_mul_hi_u32 v8, v6, 24
	v_mul_lo_u32 v6, v6, 24
	v_add_u32_e32 v7, v8, v7
	v_add_co_u32_e32 v8, vcc, v4, v6
	v_addc_co_u32_e32 v9, vcc, v5, v7, vcc
	global_store_dwordx2 v[8:9], v[16:17], off
	buffer_wbl2
	s_waitcnt vmcnt(0)
	global_atomic_cmpswap_x2 v[6:7], v10, v[14:17], s[8:9] offset:32 glc
	s_waitcnt vmcnt(0)
	v_cmp_ne_u64_e32 vcc, v[6:7], v[16:17]
	s_and_saveexec_b64 s[16:17], vcc
	s_cbranch_execz .LBB4_151
; %bb.149:
	s_mov_b64 s[18:19], 0
.LBB4_150:                              ; =>This Inner Loop Header: Depth=1
	s_sleep 1
	global_store_dwordx2 v[8:9], v[6:7], off
	v_mov_b32_e32 v4, s12
	v_mov_b32_e32 v5, s13
	buffer_wbl2
	s_waitcnt vmcnt(0)
	global_atomic_cmpswap_x2 v[4:5], v10, v[4:7], s[8:9] offset:32 glc
	s_waitcnt vmcnt(0)
	v_cmp_eq_u64_e32 vcc, v[4:5], v[6:7]
	s_or_b64 s[18:19], vcc, s[18:19]
	v_pk_mov_b32 v[6:7], v[4:5], v[4:5] op_sel:[0,1]
	s_andn2_b64 exec, exec, s[18:19]
	s_cbranch_execnz .LBB4_150
.LBB4_151:
	s_or_b64 exec, exec, s[16:17]
	v_mov_b32_e32 v7, 0
	global_load_dwordx2 v[4:5], v7, s[8:9] offset:16
	s_mov_b64 s[16:17], exec
	v_mbcnt_lo_u32_b32 v6, s16, 0
	v_mbcnt_hi_u32_b32 v6, s17, v6
	v_cmp_eq_u32_e32 vcc, 0, v6
	s_and_saveexec_b64 s[18:19], vcc
	s_cbranch_execz .LBB4_153
; %bb.152:
	s_bcnt1_i32_b64 s16, s[16:17]
	v_mov_b32_e32 v6, s16
	buffer_wbl2
	s_waitcnt vmcnt(0)
	global_atomic_add_x2 v[4:5], v[6:7], off offset:8
.LBB4_153:
	s_or_b64 exec, exec, s[18:19]
	s_waitcnt vmcnt(0)
	global_load_dwordx2 v[6:7], v[4:5], off offset:16
	s_waitcnt vmcnt(0)
	v_cmp_eq_u64_e32 vcc, 0, v[6:7]
	s_cbranch_vccnz .LBB4_155
; %bb.154:
	global_load_dword v4, v[4:5], off offset:24
	v_mov_b32_e32 v5, 0
	buffer_wbl2
	s_waitcnt vmcnt(0)
	global_store_dwordx2 v[6:7], v[4:5], off
	v_and_b32_e32 v4, 0xffffff, v4
	v_readfirstlane_b32 m0, v4
	s_sendmsg sendmsg(MSG_INTERRUPT)
.LBB4_155:
	s_or_b64 exec, exec, s[14:15]
	s_branch .LBB4_159
.LBB4_156:                              ;   in Loop: Header=BB4_159 Depth=1
	s_or_b64 exec, exec, s[14:15]
	v_readfirstlane_b32 s14, v4
	s_cmp_eq_u32 s14, 0
	s_cbranch_scc1 .LBB4_158
; %bb.157:                              ;   in Loop: Header=BB4_159 Depth=1
	s_sleep 1
	s_cbranch_execnz .LBB4_159
	s_branch .LBB4_161
.LBB4_158:
	s_branch .LBB4_161
.LBB4_159:                              ; =>This Inner Loop Header: Depth=1
	v_mov_b32_e32 v4, 1
	s_and_saveexec_b64 s[14:15], s[0:1]
	s_cbranch_execz .LBB4_156
; %bb.160:                              ;   in Loop: Header=BB4_159 Depth=1
	global_load_dword v4, v[0:1], off offset:20 glc
	s_waitcnt vmcnt(0)
	buffer_invl2
	buffer_wbinvl1_vol
	v_and_b32_e32 v4, 1, v4
	s_branch .LBB4_156
.LBB4_161:
	global_load_dwordx2 v[4:5], v[12:13], off
	s_and_saveexec_b64 s[14:15], s[0:1]
	s_cbranch_execz .LBB4_164
; %bb.162:
	v_mov_b32_e32 v10, 0
	global_load_dwordx2 v[0:1], v10, s[8:9] offset:40
	global_load_dwordx2 v[12:13], v10, s[8:9] offset:24 glc
	global_load_dwordx2 v[14:15], v10, s[8:9]
	v_mov_b32_e32 v7, s13
	s_mov_b64 s[0:1], 0
	s_waitcnt vmcnt(2)
	v_add_co_u32_e32 v9, vcc, 1, v0
	v_addc_co_u32_e32 v11, vcc, 0, v1, vcc
	v_add_co_u32_e32 v6, vcc, s12, v9
	v_addc_co_u32_e32 v7, vcc, v11, v7, vcc
	v_cmp_eq_u64_e32 vcc, 0, v[6:7]
	v_cndmask_b32_e32 v7, v7, v11, vcc
	v_cndmask_b32_e32 v6, v6, v9, vcc
	v_and_b32_e32 v1, v7, v1
	v_and_b32_e32 v0, v6, v0
	v_mul_lo_u32 v1, v1, 24
	v_mul_hi_u32 v9, v0, 24
	v_mul_lo_u32 v0, v0, 24
	v_add_u32_e32 v1, v9, v1
	s_waitcnt vmcnt(0)
	v_add_co_u32_e32 v0, vcc, v14, v0
	v_addc_co_u32_e32 v1, vcc, v15, v1, vcc
	v_mov_b32_e32 v8, v12
	global_store_dwordx2 v[0:1], v[12:13], off
	v_mov_b32_e32 v9, v13
	buffer_wbl2
	s_waitcnt vmcnt(0)
	global_atomic_cmpswap_x2 v[8:9], v10, v[6:9], s[8:9] offset:24 glc
	s_waitcnt vmcnt(0)
	v_cmp_ne_u64_e32 vcc, v[8:9], v[12:13]
	s_and_b64 exec, exec, vcc
	s_cbranch_execz .LBB4_164
.LBB4_163:                              ; =>This Inner Loop Header: Depth=1
	s_sleep 1
	global_store_dwordx2 v[0:1], v[8:9], off
	buffer_wbl2
	s_waitcnt vmcnt(0)
	global_atomic_cmpswap_x2 v[12:13], v10, v[6:9], s[8:9] offset:24 glc
	s_waitcnt vmcnt(0)
	v_cmp_eq_u64_e32 vcc, v[12:13], v[8:9]
	s_or_b64 s[0:1], vcc, s[0:1]
	v_pk_mov_b32 v[8:9], v[12:13], v[12:13] op_sel:[0,1]
	s_andn2_b64 exec, exec, s[0:1]
	s_cbranch_execnz .LBB4_163
.LBB4_164:
	s_or_b64 exec, exec, s[14:15]
	s_getpc_b64 s[12:13]
	s_add_u32 s12, s12, .str.4@rel32@lo+4
	s_addc_u32 s13, s13, .str.4@rel32@hi+12
	s_cmp_lg_u64 s[12:13], 0
	s_cbranch_scc0 .LBB4_249
; %bb.165:
	s_waitcnt vmcnt(0)
	v_and_b32_e32 v0, 2, v4
	v_mov_b32_e32 v33, 0
	v_and_b32_e32 v6, -3, v4
	v_mov_b32_e32 v7, v5
	s_mov_b64 s[14:15], 0x59
	v_mov_b32_e32 v10, 2
	v_mov_b32_e32 v11, 1
	s_branch .LBB4_167
.LBB4_166:                              ;   in Loop: Header=BB4_167 Depth=1
	s_or_b64 exec, exec, s[20:21]
	s_sub_u32 s14, s14, s16
	s_subb_u32 s15, s15, s17
	s_add_u32 s12, s12, s16
	s_addc_u32 s13, s13, s17
	s_cmp_lg_u64 s[14:15], 0
	s_cbranch_scc0 .LBB4_248
.LBB4_167:                              ; =>This Loop Header: Depth=1
                                        ;     Child Loop BB4_170 Depth 2
                                        ;     Child Loop BB4_177 Depth 2
	;; [unrolled: 1-line block ×11, first 2 shown]
	v_cmp_lt_u64_e64 s[0:1], s[14:15], 56
	s_and_b64 s[0:1], s[0:1], exec
	v_cmp_gt_u64_e64 s[0:1], s[14:15], 7
	s_cselect_b32 s17, s15, 0
	s_cselect_b32 s16, s14, 56
	s_and_b64 vcc, exec, s[0:1]
	s_cbranch_vccnz .LBB4_172
; %bb.168:                              ;   in Loop: Header=BB4_167 Depth=1
	s_mov_b64 s[0:1], 0
	s_cmp_eq_u64 s[14:15], 0
	v_pk_mov_b32 v[14:15], 0, 0
	s_cbranch_scc1 .LBB4_171
; %bb.169:                              ;   in Loop: Header=BB4_167 Depth=1
	s_lshl_b64 s[18:19], s[16:17], 3
	s_mov_b64 s[20:21], 0
	v_pk_mov_b32 v[14:15], 0, 0
	s_mov_b64 s[22:23], s[12:13]
.LBB4_170:                              ;   Parent Loop BB4_167 Depth=1
                                        ; =>  This Inner Loop Header: Depth=2
	global_load_ubyte v1, v33, s[22:23]
	s_waitcnt vmcnt(0)
	v_and_b32_e32 v32, 0xffff, v1
	v_lshlrev_b64 v[8:9], s20, v[32:33]
	s_add_u32 s20, s20, 8
	s_addc_u32 s21, s21, 0
	s_add_u32 s22, s22, 1
	s_addc_u32 s23, s23, 0
	v_or_b32_e32 v14, v8, v14
	s_cmp_lg_u32 s18, s20
	v_or_b32_e32 v15, v9, v15
	s_cbranch_scc1 .LBB4_170
.LBB4_171:                              ;   in Loop: Header=BB4_167 Depth=1
	s_mov_b32 s22, 0
	s_andn2_b64 vcc, exec, s[0:1]
	s_mov_b64 s[0:1], s[12:13]
	s_cbranch_vccz .LBB4_173
	s_branch .LBB4_174
.LBB4_172:                              ;   in Loop: Header=BB4_167 Depth=1
                                        ; implicit-def: $vgpr14_vgpr15
                                        ; implicit-def: $sgpr22
	s_mov_b64 s[0:1], s[12:13]
.LBB4_173:                              ;   in Loop: Header=BB4_167 Depth=1
	global_load_dwordx2 v[14:15], v33, s[12:13]
	s_add_i32 s22, s16, -8
	s_add_u32 s0, s12, 8
	s_addc_u32 s1, s13, 0
.LBB4_174:                              ;   in Loop: Header=BB4_167 Depth=1
	s_cmp_gt_u32 s22, 7
	s_cbranch_scc1 .LBB4_178
; %bb.175:                              ;   in Loop: Header=BB4_167 Depth=1
	s_cmp_eq_u32 s22, 0
	s_cbranch_scc1 .LBB4_179
; %bb.176:                              ;   in Loop: Header=BB4_167 Depth=1
	s_mov_b64 s[18:19], 0
	v_pk_mov_b32 v[16:17], 0, 0
	s_mov_b64 s[20:21], 0
.LBB4_177:                              ;   Parent Loop BB4_167 Depth=1
                                        ; =>  This Inner Loop Header: Depth=2
	s_add_u32 s24, s0, s20
	s_addc_u32 s25, s1, s21
	global_load_ubyte v1, v33, s[24:25]
	s_add_u32 s20, s20, 1
	s_addc_u32 s21, s21, 0
	s_waitcnt vmcnt(0)
	v_and_b32_e32 v32, 0xffff, v1
	v_lshlrev_b64 v[8:9], s18, v[32:33]
	s_add_u32 s18, s18, 8
	s_addc_u32 s19, s19, 0
	v_or_b32_e32 v16, v8, v16
	s_cmp_lg_u32 s22, s20
	v_or_b32_e32 v17, v9, v17
	s_cbranch_scc1 .LBB4_177
	s_branch .LBB4_180
.LBB4_178:                              ;   in Loop: Header=BB4_167 Depth=1
                                        ; implicit-def: $vgpr16_vgpr17
                                        ; implicit-def: $sgpr23
	s_branch .LBB4_181
.LBB4_179:                              ;   in Loop: Header=BB4_167 Depth=1
	v_pk_mov_b32 v[16:17], 0, 0
.LBB4_180:                              ;   in Loop: Header=BB4_167 Depth=1
	s_mov_b32 s23, 0
	s_cbranch_execnz .LBB4_182
.LBB4_181:                              ;   in Loop: Header=BB4_167 Depth=1
	global_load_dwordx2 v[16:17], v33, s[0:1]
	s_add_i32 s23, s22, -8
	s_add_u32 s0, s0, 8
	s_addc_u32 s1, s1, 0
.LBB4_182:                              ;   in Loop: Header=BB4_167 Depth=1
	s_cmp_gt_u32 s23, 7
	s_cbranch_scc1 .LBB4_186
; %bb.183:                              ;   in Loop: Header=BB4_167 Depth=1
	s_cmp_eq_u32 s23, 0
	s_cbranch_scc1 .LBB4_187
; %bb.184:                              ;   in Loop: Header=BB4_167 Depth=1
	s_mov_b64 s[18:19], 0
	v_pk_mov_b32 v[18:19], 0, 0
	s_mov_b64 s[20:21], 0
.LBB4_185:                              ;   Parent Loop BB4_167 Depth=1
                                        ; =>  This Inner Loop Header: Depth=2
	s_add_u32 s24, s0, s20
	s_addc_u32 s25, s1, s21
	global_load_ubyte v1, v33, s[24:25]
	s_add_u32 s20, s20, 1
	s_addc_u32 s21, s21, 0
	s_waitcnt vmcnt(0)
	v_and_b32_e32 v32, 0xffff, v1
	v_lshlrev_b64 v[8:9], s18, v[32:33]
	s_add_u32 s18, s18, 8
	s_addc_u32 s19, s19, 0
	v_or_b32_e32 v18, v8, v18
	s_cmp_lg_u32 s23, s20
	v_or_b32_e32 v19, v9, v19
	s_cbranch_scc1 .LBB4_185
	s_branch .LBB4_188
.LBB4_186:                              ;   in Loop: Header=BB4_167 Depth=1
                                        ; implicit-def: $sgpr22
	s_branch .LBB4_189
.LBB4_187:                              ;   in Loop: Header=BB4_167 Depth=1
	v_pk_mov_b32 v[18:19], 0, 0
.LBB4_188:                              ;   in Loop: Header=BB4_167 Depth=1
	s_mov_b32 s22, 0
	s_cbranch_execnz .LBB4_190
.LBB4_189:                              ;   in Loop: Header=BB4_167 Depth=1
	global_load_dwordx2 v[18:19], v33, s[0:1]
	s_add_i32 s22, s23, -8
	s_add_u32 s0, s0, 8
	s_addc_u32 s1, s1, 0
.LBB4_190:                              ;   in Loop: Header=BB4_167 Depth=1
	s_cmp_gt_u32 s22, 7
	s_cbranch_scc1 .LBB4_194
; %bb.191:                              ;   in Loop: Header=BB4_167 Depth=1
	s_cmp_eq_u32 s22, 0
	s_cbranch_scc1 .LBB4_195
; %bb.192:                              ;   in Loop: Header=BB4_167 Depth=1
	s_mov_b64 s[18:19], 0
	v_pk_mov_b32 v[20:21], 0, 0
	s_mov_b64 s[20:21], 0
.LBB4_193:                              ;   Parent Loop BB4_167 Depth=1
                                        ; =>  This Inner Loop Header: Depth=2
	s_add_u32 s24, s0, s20
	s_addc_u32 s25, s1, s21
	global_load_ubyte v1, v33, s[24:25]
	s_add_u32 s20, s20, 1
	s_addc_u32 s21, s21, 0
	s_waitcnt vmcnt(0)
	v_and_b32_e32 v32, 0xffff, v1
	v_lshlrev_b64 v[8:9], s18, v[32:33]
	s_add_u32 s18, s18, 8
	s_addc_u32 s19, s19, 0
	v_or_b32_e32 v20, v8, v20
	s_cmp_lg_u32 s22, s20
	v_or_b32_e32 v21, v9, v21
	s_cbranch_scc1 .LBB4_193
	s_branch .LBB4_196
.LBB4_194:                              ;   in Loop: Header=BB4_167 Depth=1
                                        ; implicit-def: $vgpr20_vgpr21
                                        ; implicit-def: $sgpr23
	s_branch .LBB4_197
.LBB4_195:                              ;   in Loop: Header=BB4_167 Depth=1
	v_pk_mov_b32 v[20:21], 0, 0
.LBB4_196:                              ;   in Loop: Header=BB4_167 Depth=1
	s_mov_b32 s23, 0
	s_cbranch_execnz .LBB4_198
.LBB4_197:                              ;   in Loop: Header=BB4_167 Depth=1
	global_load_dwordx2 v[20:21], v33, s[0:1]
	s_add_i32 s23, s22, -8
	s_add_u32 s0, s0, 8
	s_addc_u32 s1, s1, 0
.LBB4_198:                              ;   in Loop: Header=BB4_167 Depth=1
	s_cmp_gt_u32 s23, 7
	s_cbranch_scc1 .LBB4_202
; %bb.199:                              ;   in Loop: Header=BB4_167 Depth=1
	s_cmp_eq_u32 s23, 0
	s_cbranch_scc1 .LBB4_203
; %bb.200:                              ;   in Loop: Header=BB4_167 Depth=1
	s_mov_b64 s[18:19], 0
	v_pk_mov_b32 v[22:23], 0, 0
	s_mov_b64 s[20:21], 0
.LBB4_201:                              ;   Parent Loop BB4_167 Depth=1
                                        ; =>  This Inner Loop Header: Depth=2
	s_add_u32 s24, s0, s20
	s_addc_u32 s25, s1, s21
	global_load_ubyte v1, v33, s[24:25]
	s_add_u32 s20, s20, 1
	s_addc_u32 s21, s21, 0
	s_waitcnt vmcnt(0)
	v_and_b32_e32 v32, 0xffff, v1
	v_lshlrev_b64 v[8:9], s18, v[32:33]
	s_add_u32 s18, s18, 8
	s_addc_u32 s19, s19, 0
	v_or_b32_e32 v22, v8, v22
	s_cmp_lg_u32 s23, s20
	v_or_b32_e32 v23, v9, v23
	s_cbranch_scc1 .LBB4_201
	s_branch .LBB4_204
.LBB4_202:                              ;   in Loop: Header=BB4_167 Depth=1
                                        ; implicit-def: $sgpr22
	s_branch .LBB4_205
.LBB4_203:                              ;   in Loop: Header=BB4_167 Depth=1
	v_pk_mov_b32 v[22:23], 0, 0
.LBB4_204:                              ;   in Loop: Header=BB4_167 Depth=1
	s_mov_b32 s22, 0
	s_cbranch_execnz .LBB4_206
.LBB4_205:                              ;   in Loop: Header=BB4_167 Depth=1
	global_load_dwordx2 v[22:23], v33, s[0:1]
	s_add_i32 s22, s23, -8
	s_add_u32 s0, s0, 8
	s_addc_u32 s1, s1, 0
.LBB4_206:                              ;   in Loop: Header=BB4_167 Depth=1
	s_cmp_gt_u32 s22, 7
	s_cbranch_scc1 .LBB4_210
; %bb.207:                              ;   in Loop: Header=BB4_167 Depth=1
	s_cmp_eq_u32 s22, 0
	s_cbranch_scc1 .LBB4_211
; %bb.208:                              ;   in Loop: Header=BB4_167 Depth=1
	s_mov_b64 s[18:19], 0
	v_pk_mov_b32 v[24:25], 0, 0
	s_mov_b64 s[20:21], 0
.LBB4_209:                              ;   Parent Loop BB4_167 Depth=1
                                        ; =>  This Inner Loop Header: Depth=2
	s_add_u32 s24, s0, s20
	s_addc_u32 s25, s1, s21
	global_load_ubyte v1, v33, s[24:25]
	s_add_u32 s20, s20, 1
	s_addc_u32 s21, s21, 0
	s_waitcnt vmcnt(0)
	v_and_b32_e32 v32, 0xffff, v1
	v_lshlrev_b64 v[8:9], s18, v[32:33]
	s_add_u32 s18, s18, 8
	s_addc_u32 s19, s19, 0
	v_or_b32_e32 v24, v8, v24
	s_cmp_lg_u32 s22, s20
	v_or_b32_e32 v25, v9, v25
	s_cbranch_scc1 .LBB4_209
	s_branch .LBB4_212
.LBB4_210:                              ;   in Loop: Header=BB4_167 Depth=1
                                        ; implicit-def: $vgpr24_vgpr25
                                        ; implicit-def: $sgpr23
	s_branch .LBB4_213
.LBB4_211:                              ;   in Loop: Header=BB4_167 Depth=1
	v_pk_mov_b32 v[24:25], 0, 0
.LBB4_212:                              ;   in Loop: Header=BB4_167 Depth=1
	s_mov_b32 s23, 0
	s_cbranch_execnz .LBB4_214
.LBB4_213:                              ;   in Loop: Header=BB4_167 Depth=1
	global_load_dwordx2 v[24:25], v33, s[0:1]
	s_add_i32 s23, s22, -8
	s_add_u32 s0, s0, 8
	s_addc_u32 s1, s1, 0
.LBB4_214:                              ;   in Loop: Header=BB4_167 Depth=1
	s_cmp_gt_u32 s23, 7
	s_cbranch_scc1 .LBB4_218
; %bb.215:                              ;   in Loop: Header=BB4_167 Depth=1
	s_cmp_eq_u32 s23, 0
	s_cbranch_scc1 .LBB4_219
; %bb.216:                              ;   in Loop: Header=BB4_167 Depth=1
	s_mov_b64 s[18:19], 0
	v_pk_mov_b32 v[26:27], 0, 0
	s_mov_b64 s[20:21], s[0:1]
.LBB4_217:                              ;   Parent Loop BB4_167 Depth=1
                                        ; =>  This Inner Loop Header: Depth=2
	global_load_ubyte v1, v33, s[20:21]
	s_add_i32 s23, s23, -1
	s_waitcnt vmcnt(0)
	v_and_b32_e32 v32, 0xffff, v1
	v_lshlrev_b64 v[8:9], s18, v[32:33]
	s_add_u32 s18, s18, 8
	s_addc_u32 s19, s19, 0
	s_add_u32 s20, s20, 1
	s_addc_u32 s21, s21, 0
	v_or_b32_e32 v26, v8, v26
	s_cmp_lg_u32 s23, 0
	v_or_b32_e32 v27, v9, v27
	s_cbranch_scc1 .LBB4_217
	s_branch .LBB4_220
.LBB4_218:                              ;   in Loop: Header=BB4_167 Depth=1
	s_branch .LBB4_221
.LBB4_219:                              ;   in Loop: Header=BB4_167 Depth=1
	v_pk_mov_b32 v[26:27], 0, 0
.LBB4_220:                              ;   in Loop: Header=BB4_167 Depth=1
	s_cbranch_execnz .LBB4_222
.LBB4_221:                              ;   in Loop: Header=BB4_167 Depth=1
	global_load_dwordx2 v[26:27], v33, s[0:1]
.LBB4_222:                              ;   in Loop: Header=BB4_167 Depth=1
	v_readfirstlane_b32 s0, v3
	v_cmp_eq_u32_e64 s[0:1], s0, v3
	s_waitcnt vmcnt(0)
	v_pk_mov_b32 v[8:9], 0, 0
	s_and_saveexec_b64 s[18:19], s[0:1]
	s_cbranch_execz .LBB4_228
; %bb.223:                              ;   in Loop: Header=BB4_167 Depth=1
	global_load_dwordx2 v[30:31], v33, s[8:9] offset:24 glc
	s_waitcnt vmcnt(0)
	buffer_invl2
	buffer_wbinvl1_vol
	global_load_dwordx2 v[8:9], v33, s[8:9] offset:40
	global_load_dwordx2 v[12:13], v33, s[8:9]
	s_waitcnt vmcnt(1)
	v_and_b32_e32 v1, v8, v30
	v_and_b32_e32 v8, v9, v31
	v_mul_lo_u32 v8, v8, 24
	v_mul_hi_u32 v9, v1, 24
	v_mul_lo_u32 v1, v1, 24
	v_add_u32_e32 v9, v9, v8
	s_waitcnt vmcnt(0)
	v_add_co_u32_e32 v8, vcc, v12, v1
	v_addc_co_u32_e32 v9, vcc, v13, v9, vcc
	global_load_dwordx2 v[28:29], v[8:9], off glc
	s_waitcnt vmcnt(0)
	global_atomic_cmpswap_x2 v[8:9], v33, v[28:31], s[8:9] offset:24 glc
	s_waitcnt vmcnt(0)
	buffer_invl2
	buffer_wbinvl1_vol
	v_cmp_ne_u64_e32 vcc, v[8:9], v[30:31]
	s_and_saveexec_b64 s[20:21], vcc
	s_cbranch_execz .LBB4_227
; %bb.224:                              ;   in Loop: Header=BB4_167 Depth=1
	s_mov_b64 s[22:23], 0
.LBB4_225:                              ;   Parent Loop BB4_167 Depth=1
                                        ; =>  This Inner Loop Header: Depth=2
	s_sleep 1
	global_load_dwordx2 v[12:13], v33, s[8:9] offset:40
	global_load_dwordx2 v[28:29], v33, s[8:9]
	v_pk_mov_b32 v[30:31], v[8:9], v[8:9] op_sel:[0,1]
	s_waitcnt vmcnt(1)
	v_and_b32_e32 v8, v12, v30
	s_waitcnt vmcnt(0)
	v_mad_u64_u32 v[8:9], s[24:25], v8, 24, v[28:29]
	v_and_b32_e32 v1, v13, v31
	v_mov_b32_e32 v12, v9
	v_mad_u64_u32 v[12:13], s[24:25], v1, 24, v[12:13]
	v_mov_b32_e32 v9, v12
	global_load_dwordx2 v[28:29], v[8:9], off glc
	s_waitcnt vmcnt(0)
	global_atomic_cmpswap_x2 v[8:9], v33, v[28:31], s[8:9] offset:24 glc
	s_waitcnt vmcnt(0)
	buffer_invl2
	buffer_wbinvl1_vol
	v_cmp_eq_u64_e32 vcc, v[8:9], v[30:31]
	s_or_b64 s[22:23], vcc, s[22:23]
	s_andn2_b64 exec, exec, s[22:23]
	s_cbranch_execnz .LBB4_225
; %bb.226:                              ;   in Loop: Header=BB4_167 Depth=1
	s_or_b64 exec, exec, s[22:23]
.LBB4_227:                              ;   in Loop: Header=BB4_167 Depth=1
	s_or_b64 exec, exec, s[20:21]
.LBB4_228:                              ;   in Loop: Header=BB4_167 Depth=1
	s_or_b64 exec, exec, s[18:19]
	global_load_dwordx2 v[12:13], v33, s[8:9] offset:40
	global_load_dwordx4 v[28:31], v33, s[8:9]
	v_readfirstlane_b32 s18, v8
	v_readfirstlane_b32 s19, v9
	s_mov_b64 s[20:21], exec
	s_waitcnt vmcnt(1)
	v_readfirstlane_b32 s22, v12
	v_readfirstlane_b32 s23, v13
	s_and_b64 s[22:23], s[18:19], s[22:23]
	s_mul_i32 s24, s23, 24
	s_mul_hi_u32 s25, s22, 24
	s_mul_i32 s26, s22, 24
	s_add_i32 s24, s25, s24
	v_mov_b32_e32 v1, s24
	s_waitcnt vmcnt(0)
	v_add_co_u32_e32 v34, vcc, s26, v28
	v_addc_co_u32_e32 v35, vcc, v29, v1, vcc
	s_and_saveexec_b64 s[24:25], s[0:1]
	s_cbranch_execz .LBB4_230
; %bb.229:                              ;   in Loop: Header=BB4_167 Depth=1
	v_pk_mov_b32 v[8:9], s[20:21], s[20:21] op_sel:[0,1]
	global_store_dwordx4 v[34:35], v[8:11], off offset:8
.LBB4_230:                              ;   in Loop: Header=BB4_167 Depth=1
	s_or_b64 exec, exec, s[24:25]
	s_lshl_b64 s[20:21], s[22:23], 12
	v_mov_b32_e32 v1, s21
	v_add_co_u32_e32 v30, vcc, s20, v30
	v_addc_co_u32_e32 v1, vcc, v31, v1, vcc
	v_or_b32_e32 v9, v6, v0
	v_cmp_gt_u64_e64 vcc, s[14:15], 56
	s_lshl_b32 s20, s16, 2
	v_cndmask_b32_e32 v6, v9, v6, vcc
	s_add_i32 s20, s20, 28
	v_or_b32_e32 v8, 0, v7
	s_and_b32 s20, s20, 0x1e0
	v_and_b32_e32 v6, 0xffffff1f, v6
	v_cndmask_b32_e32 v13, v8, v7, vcc
	v_or_b32_e32 v12, s20, v6
	v_readfirstlane_b32 s20, v30
	v_readfirstlane_b32 s21, v1
	s_nop 4
	global_store_dwordx4 v36, v[12:15], s[20:21]
	global_store_dwordx4 v36, v[16:19], s[20:21] offset:16
	global_store_dwordx4 v36, v[20:23], s[20:21] offset:32
	global_store_dwordx4 v36, v[24:27], s[20:21] offset:48
	s_and_saveexec_b64 s[20:21], s[0:1]
	s_cbranch_execz .LBB4_238
; %bb.231:                              ;   in Loop: Header=BB4_167 Depth=1
	global_load_dwordx2 v[16:17], v33, s[8:9] offset:32 glc
	global_load_dwordx2 v[6:7], v33, s[8:9] offset:40
	v_mov_b32_e32 v14, s18
	v_mov_b32_e32 v15, s19
	s_waitcnt vmcnt(0)
	v_readfirstlane_b32 s22, v6
	v_readfirstlane_b32 s23, v7
	s_and_b64 s[22:23], s[22:23], s[18:19]
	s_mul_i32 s23, s23, 24
	s_mul_hi_u32 s24, s22, 24
	s_mul_i32 s22, s22, 24
	s_add_i32 s23, s24, s23
	v_mov_b32_e32 v6, s23
	v_add_co_u32_e32 v12, vcc, s22, v28
	v_addc_co_u32_e32 v13, vcc, v29, v6, vcc
	global_store_dwordx2 v[12:13], v[16:17], off
	buffer_wbl2
	s_waitcnt vmcnt(0)
	global_atomic_cmpswap_x2 v[8:9], v33, v[14:17], s[8:9] offset:32 glc
	s_waitcnt vmcnt(0)
	v_cmp_ne_u64_e32 vcc, v[8:9], v[16:17]
	s_and_saveexec_b64 s[22:23], vcc
	s_cbranch_execz .LBB4_234
; %bb.232:                              ;   in Loop: Header=BB4_167 Depth=1
	s_mov_b64 s[24:25], 0
.LBB4_233:                              ;   Parent Loop BB4_167 Depth=1
                                        ; =>  This Inner Loop Header: Depth=2
	s_sleep 1
	global_store_dwordx2 v[12:13], v[8:9], off
	v_mov_b32_e32 v6, s18
	v_mov_b32_e32 v7, s19
	buffer_wbl2
	s_waitcnt vmcnt(0)
	global_atomic_cmpswap_x2 v[6:7], v33, v[6:9], s[8:9] offset:32 glc
	s_waitcnt vmcnt(0)
	v_cmp_eq_u64_e32 vcc, v[6:7], v[8:9]
	s_or_b64 s[24:25], vcc, s[24:25]
	v_pk_mov_b32 v[8:9], v[6:7], v[6:7] op_sel:[0,1]
	s_andn2_b64 exec, exec, s[24:25]
	s_cbranch_execnz .LBB4_233
.LBB4_234:                              ;   in Loop: Header=BB4_167 Depth=1
	s_or_b64 exec, exec, s[22:23]
	global_load_dwordx2 v[6:7], v33, s[8:9] offset:16
	s_mov_b64 s[24:25], exec
	v_mbcnt_lo_u32_b32 v8, s24, 0
	v_mbcnt_hi_u32_b32 v8, s25, v8
	v_cmp_eq_u32_e32 vcc, 0, v8
	s_and_saveexec_b64 s[22:23], vcc
	s_cbranch_execz .LBB4_236
; %bb.235:                              ;   in Loop: Header=BB4_167 Depth=1
	s_bcnt1_i32_b64 s24, s[24:25]
	v_mov_b32_e32 v32, s24
	buffer_wbl2
	s_waitcnt vmcnt(0)
	global_atomic_add_x2 v[6:7], v[32:33], off offset:8
.LBB4_236:                              ;   in Loop: Header=BB4_167 Depth=1
	s_or_b64 exec, exec, s[22:23]
	s_waitcnt vmcnt(0)
	global_load_dwordx2 v[8:9], v[6:7], off offset:16
	s_waitcnt vmcnt(0)
	v_cmp_eq_u64_e32 vcc, 0, v[8:9]
	s_cbranch_vccnz .LBB4_238
; %bb.237:                              ;   in Loop: Header=BB4_167 Depth=1
	global_load_dword v32, v[6:7], off offset:24
	s_waitcnt vmcnt(0)
	v_and_b32_e32 v6, 0xffffff, v32
	v_readfirstlane_b32 m0, v6
	buffer_wbl2
	global_store_dwordx2 v[8:9], v[32:33], off
	s_sendmsg sendmsg(MSG_INTERRUPT)
.LBB4_238:                              ;   in Loop: Header=BB4_167 Depth=1
	s_or_b64 exec, exec, s[20:21]
	v_add_co_u32_e32 v6, vcc, v30, v36
	v_addc_co_u32_e32 v7, vcc, 0, v1, vcc
	s_branch .LBB4_242
.LBB4_239:                              ;   in Loop: Header=BB4_242 Depth=2
	s_or_b64 exec, exec, s[20:21]
	v_readfirstlane_b32 s20, v1
	s_cmp_eq_u32 s20, 0
	s_cbranch_scc1 .LBB4_241
; %bb.240:                              ;   in Loop: Header=BB4_242 Depth=2
	s_sleep 1
	s_cbranch_execnz .LBB4_242
	s_branch .LBB4_244
.LBB4_241:                              ;   in Loop: Header=BB4_167 Depth=1
	s_branch .LBB4_244
.LBB4_242:                              ;   Parent Loop BB4_167 Depth=1
                                        ; =>  This Inner Loop Header: Depth=2
	v_mov_b32_e32 v1, 1
	s_and_saveexec_b64 s[20:21], s[0:1]
	s_cbranch_execz .LBB4_239
; %bb.243:                              ;   in Loop: Header=BB4_242 Depth=2
	global_load_dword v1, v[34:35], off offset:20 glc
	s_waitcnt vmcnt(0)
	buffer_invl2
	buffer_wbinvl1_vol
	v_and_b32_e32 v1, 1, v1
	s_branch .LBB4_239
.LBB4_244:                              ;   in Loop: Header=BB4_167 Depth=1
	global_load_dwordx4 v[6:9], v[6:7], off
	s_and_saveexec_b64 s[20:21], s[0:1]
	s_cbranch_execz .LBB4_166
; %bb.245:                              ;   in Loop: Header=BB4_167 Depth=1
	global_load_dwordx2 v[8:9], v33, s[8:9] offset:40
	global_load_dwordx2 v[16:17], v33, s[8:9] offset:24 glc
	global_load_dwordx2 v[18:19], v33, s[8:9]
	v_mov_b32_e32 v1, s19
	s_waitcnt vmcnt(2)
	v_add_co_u32_e32 v15, vcc, 1, v8
	v_addc_co_u32_e32 v20, vcc, 0, v9, vcc
	v_add_co_u32_e32 v12, vcc, s18, v15
	v_addc_co_u32_e32 v13, vcc, v20, v1, vcc
	v_cmp_eq_u64_e32 vcc, 0, v[12:13]
	v_cndmask_b32_e32 v13, v13, v20, vcc
	v_cndmask_b32_e32 v12, v12, v15, vcc
	v_and_b32_e32 v1, v13, v9
	v_and_b32_e32 v8, v12, v8
	v_mul_lo_u32 v1, v1, 24
	v_mul_hi_u32 v9, v8, 24
	v_mul_lo_u32 v8, v8, 24
	v_add_u32_e32 v1, v9, v1
	s_waitcnt vmcnt(0)
	v_add_co_u32_e32 v8, vcc, v18, v8
	v_addc_co_u32_e32 v9, vcc, v19, v1, vcc
	v_mov_b32_e32 v14, v16
	global_store_dwordx2 v[8:9], v[16:17], off
	v_mov_b32_e32 v15, v17
	buffer_wbl2
	s_waitcnt vmcnt(0)
	global_atomic_cmpswap_x2 v[14:15], v33, v[12:15], s[8:9] offset:24 glc
	s_waitcnt vmcnt(0)
	v_cmp_ne_u64_e32 vcc, v[14:15], v[16:17]
	s_and_b64 exec, exec, vcc
	s_cbranch_execz .LBB4_166
; %bb.246:                              ;   in Loop: Header=BB4_167 Depth=1
	s_mov_b64 s[0:1], 0
.LBB4_247:                              ;   Parent Loop BB4_167 Depth=1
                                        ; =>  This Inner Loop Header: Depth=2
	s_sleep 1
	global_store_dwordx2 v[8:9], v[14:15], off
	buffer_wbl2
	s_waitcnt vmcnt(0)
	global_atomic_cmpswap_x2 v[16:17], v33, v[12:15], s[8:9] offset:24 glc
	s_waitcnt vmcnt(0)
	v_cmp_eq_u64_e32 vcc, v[16:17], v[14:15]
	s_or_b64 s[0:1], vcc, s[0:1]
	v_pk_mov_b32 v[14:15], v[16:17], v[16:17] op_sel:[0,1]
	s_andn2_b64 exec, exec, s[0:1]
	s_cbranch_execnz .LBB4_247
	s_branch .LBB4_166
.LBB4_248:
	s_branch .LBB4_276
.LBB4_249:
                                        ; implicit-def: $vgpr6_vgpr7
	s_cbranch_execz .LBB4_276
; %bb.250:
	v_readfirstlane_b32 s0, v3
	v_cmp_eq_u32_e64 s[0:1], s0, v3
	v_pk_mov_b32 v[0:1], 0, 0
	s_and_saveexec_b64 s[12:13], s[0:1]
	s_cbranch_execz .LBB4_256
; %bb.251:
	s_waitcnt vmcnt(0)
	v_mov_b32_e32 v6, 0
	global_load_dwordx2 v[10:11], v6, s[8:9] offset:24 glc
	s_waitcnt vmcnt(0)
	buffer_invl2
	buffer_wbinvl1_vol
	global_load_dwordx2 v[0:1], v6, s[8:9] offset:40
	global_load_dwordx2 v[8:9], v6, s[8:9]
	s_waitcnt vmcnt(1)
	v_and_b32_e32 v0, v0, v10
	v_and_b32_e32 v1, v1, v11
	v_mul_lo_u32 v1, v1, 24
	v_mul_hi_u32 v7, v0, 24
	v_mul_lo_u32 v0, v0, 24
	v_add_u32_e32 v1, v7, v1
	s_waitcnt vmcnt(0)
	v_add_co_u32_e32 v0, vcc, v8, v0
	v_addc_co_u32_e32 v1, vcc, v9, v1, vcc
	global_load_dwordx2 v[8:9], v[0:1], off glc
	s_waitcnt vmcnt(0)
	global_atomic_cmpswap_x2 v[0:1], v6, v[8:11], s[8:9] offset:24 glc
	s_waitcnt vmcnt(0)
	buffer_invl2
	buffer_wbinvl1_vol
	v_cmp_ne_u64_e32 vcc, v[0:1], v[10:11]
	s_and_saveexec_b64 s[14:15], vcc
	s_cbranch_execz .LBB4_255
; %bb.252:
	s_mov_b64 s[16:17], 0
.LBB4_253:                              ; =>This Inner Loop Header: Depth=1
	s_sleep 1
	global_load_dwordx2 v[8:9], v6, s[8:9] offset:40
	global_load_dwordx2 v[12:13], v6, s[8:9]
	v_pk_mov_b32 v[10:11], v[0:1], v[0:1] op_sel:[0,1]
	s_waitcnt vmcnt(1)
	v_and_b32_e32 v0, v8, v10
	s_waitcnt vmcnt(0)
	v_mad_u64_u32 v[0:1], s[18:19], v0, 24, v[12:13]
	v_and_b32_e32 v7, v9, v11
	v_mov_b32_e32 v8, v1
	v_mad_u64_u32 v[8:9], s[18:19], v7, 24, v[8:9]
	v_mov_b32_e32 v1, v8
	global_load_dwordx2 v[8:9], v[0:1], off glc
	s_waitcnt vmcnt(0)
	global_atomic_cmpswap_x2 v[0:1], v6, v[8:11], s[8:9] offset:24 glc
	s_waitcnt vmcnt(0)
	buffer_invl2
	buffer_wbinvl1_vol
	v_cmp_eq_u64_e32 vcc, v[0:1], v[10:11]
	s_or_b64 s[16:17], vcc, s[16:17]
	s_andn2_b64 exec, exec, s[16:17]
	s_cbranch_execnz .LBB4_253
; %bb.254:
	s_or_b64 exec, exec, s[16:17]
.LBB4_255:
	s_or_b64 exec, exec, s[14:15]
.LBB4_256:
	s_or_b64 exec, exec, s[12:13]
	s_waitcnt vmcnt(0)
	v_mov_b32_e32 v6, 0
	global_load_dwordx2 v[12:13], v6, s[8:9] offset:40
	global_load_dwordx4 v[8:11], v6, s[8:9]
	v_readfirstlane_b32 s12, v0
	v_readfirstlane_b32 s13, v1
	s_mov_b64 s[14:15], exec
	s_waitcnt vmcnt(1)
	v_readfirstlane_b32 s16, v12
	v_readfirstlane_b32 s17, v13
	s_and_b64 s[16:17], s[12:13], s[16:17]
	s_mul_i32 s18, s17, 24
	s_mul_hi_u32 s19, s16, 24
	s_mul_i32 s20, s16, 24
	s_add_i32 s18, s19, s18
	v_mov_b32_e32 v1, s18
	s_waitcnt vmcnt(0)
	v_add_co_u32_e32 v0, vcc, s20, v8
	v_addc_co_u32_e32 v1, vcc, v9, v1, vcc
	s_and_saveexec_b64 s[18:19], s[0:1]
	s_cbranch_execz .LBB4_258
; %bb.257:
	v_pk_mov_b32 v[12:13], s[14:15], s[14:15] op_sel:[0,1]
	v_mov_b32_e32 v14, 2
	v_mov_b32_e32 v15, 1
	global_store_dwordx4 v[0:1], v[12:15], off offset:8
.LBB4_258:
	s_or_b64 exec, exec, s[18:19]
	s_lshl_b64 s[14:15], s[16:17], 12
	v_mov_b32_e32 v7, s15
	v_add_co_u32_e32 v12, vcc, s14, v10
	v_addc_co_u32_e32 v13, vcc, v11, v7, vcc
	s_movk_i32 s14, 0xff1f
	s_mov_b32 s16, 0
	v_and_or_b32 v4, v4, s14, 32
	v_mov_b32_e32 v7, v6
	v_readfirstlane_b32 s14, v12
	v_readfirstlane_b32 s15, v13
	s_mov_b32 s17, s16
	v_add_co_u32_e32 v10, vcc, v12, v36
	s_mov_b32 s18, s16
	s_mov_b32 s19, s16
	s_nop 0
	global_store_dwordx4 v36, v[4:7], s[14:15]
	v_addc_co_u32_e32 v11, vcc, 0, v13, vcc
	v_pk_mov_b32 v[4:5], s[16:17], s[16:17] op_sel:[0,1]
	v_pk_mov_b32 v[6:7], s[18:19], s[18:19] op_sel:[0,1]
	global_store_dwordx4 v36, v[4:7], s[14:15] offset:16
	global_store_dwordx4 v36, v[4:7], s[14:15] offset:32
	;; [unrolled: 1-line block ×3, first 2 shown]
	s_and_saveexec_b64 s[14:15], s[0:1]
	s_cbranch_execz .LBB4_266
; %bb.259:
	v_mov_b32_e32 v12, 0
	global_load_dwordx2 v[16:17], v12, s[8:9] offset:32 glc
	global_load_dwordx2 v[4:5], v12, s[8:9] offset:40
	v_mov_b32_e32 v14, s12
	v_mov_b32_e32 v15, s13
	s_waitcnt vmcnt(0)
	v_readfirstlane_b32 s16, v4
	v_readfirstlane_b32 s17, v5
	s_and_b64 s[16:17], s[16:17], s[12:13]
	s_mul_i32 s17, s17, 24
	s_mul_hi_u32 s18, s16, 24
	s_mul_i32 s16, s16, 24
	s_add_i32 s17, s18, s17
	v_mov_b32_e32 v4, s17
	v_add_co_u32_e32 v8, vcc, s16, v8
	v_addc_co_u32_e32 v9, vcc, v9, v4, vcc
	global_store_dwordx2 v[8:9], v[16:17], off
	buffer_wbl2
	s_waitcnt vmcnt(0)
	global_atomic_cmpswap_x2 v[6:7], v12, v[14:17], s[8:9] offset:32 glc
	s_waitcnt vmcnt(0)
	v_cmp_ne_u64_e32 vcc, v[6:7], v[16:17]
	s_and_saveexec_b64 s[16:17], vcc
	s_cbranch_execz .LBB4_262
; %bb.260:
	s_mov_b64 s[18:19], 0
.LBB4_261:                              ; =>This Inner Loop Header: Depth=1
	s_sleep 1
	global_store_dwordx2 v[8:9], v[6:7], off
	v_mov_b32_e32 v4, s12
	v_mov_b32_e32 v5, s13
	buffer_wbl2
	s_waitcnt vmcnt(0)
	global_atomic_cmpswap_x2 v[4:5], v12, v[4:7], s[8:9] offset:32 glc
	s_waitcnt vmcnt(0)
	v_cmp_eq_u64_e32 vcc, v[4:5], v[6:7]
	s_or_b64 s[18:19], vcc, s[18:19]
	v_pk_mov_b32 v[6:7], v[4:5], v[4:5] op_sel:[0,1]
	s_andn2_b64 exec, exec, s[18:19]
	s_cbranch_execnz .LBB4_261
.LBB4_262:
	s_or_b64 exec, exec, s[16:17]
	v_mov_b32_e32 v7, 0
	global_load_dwordx2 v[4:5], v7, s[8:9] offset:16
	s_mov_b64 s[16:17], exec
	v_mbcnt_lo_u32_b32 v6, s16, 0
	v_mbcnt_hi_u32_b32 v6, s17, v6
	v_cmp_eq_u32_e32 vcc, 0, v6
	s_and_saveexec_b64 s[18:19], vcc
	s_cbranch_execz .LBB4_264
; %bb.263:
	s_bcnt1_i32_b64 s16, s[16:17]
	v_mov_b32_e32 v6, s16
	buffer_wbl2
	s_waitcnt vmcnt(0)
	global_atomic_add_x2 v[4:5], v[6:7], off offset:8
.LBB4_264:
	s_or_b64 exec, exec, s[18:19]
	s_waitcnt vmcnt(0)
	global_load_dwordx2 v[6:7], v[4:5], off offset:16
	s_waitcnt vmcnt(0)
	v_cmp_eq_u64_e32 vcc, 0, v[6:7]
	s_cbranch_vccnz .LBB4_266
; %bb.265:
	global_load_dword v4, v[4:5], off offset:24
	v_mov_b32_e32 v5, 0
	buffer_wbl2
	s_waitcnt vmcnt(0)
	global_store_dwordx2 v[6:7], v[4:5], off
	v_and_b32_e32 v4, 0xffffff, v4
	v_readfirstlane_b32 m0, v4
	s_sendmsg sendmsg(MSG_INTERRUPT)
.LBB4_266:
	s_or_b64 exec, exec, s[14:15]
	s_branch .LBB4_270
.LBB4_267:                              ;   in Loop: Header=BB4_270 Depth=1
	s_or_b64 exec, exec, s[14:15]
	v_readfirstlane_b32 s14, v4
	s_cmp_eq_u32 s14, 0
	s_cbranch_scc1 .LBB4_269
; %bb.268:                              ;   in Loop: Header=BB4_270 Depth=1
	s_sleep 1
	s_cbranch_execnz .LBB4_270
	s_branch .LBB4_272
.LBB4_269:
	s_branch .LBB4_272
.LBB4_270:                              ; =>This Inner Loop Header: Depth=1
	v_mov_b32_e32 v4, 1
	s_and_saveexec_b64 s[14:15], s[0:1]
	s_cbranch_execz .LBB4_267
; %bb.271:                              ;   in Loop: Header=BB4_270 Depth=1
	global_load_dword v4, v[0:1], off offset:20 glc
	s_waitcnt vmcnt(0)
	buffer_invl2
	buffer_wbinvl1_vol
	v_and_b32_e32 v4, 1, v4
	s_branch .LBB4_267
.LBB4_272:
	global_load_dwordx2 v[6:7], v[10:11], off
	s_and_saveexec_b64 s[14:15], s[0:1]
	s_cbranch_execz .LBB4_275
; %bb.273:
	v_mov_b32_e32 v4, 0
	global_load_dwordx2 v[0:1], v4, s[8:9] offset:40
	global_load_dwordx2 v[12:13], v4, s[8:9] offset:24 glc
	global_load_dwordx2 v[14:15], v4, s[8:9]
	v_mov_b32_e32 v5, s13
	s_mov_b64 s[0:1], 0
	s_waitcnt vmcnt(2)
	v_add_co_u32_e32 v11, vcc, 1, v0
	v_addc_co_u32_e32 v16, vcc, 0, v1, vcc
	v_add_co_u32_e32 v8, vcc, s12, v11
	v_addc_co_u32_e32 v9, vcc, v16, v5, vcc
	v_cmp_eq_u64_e32 vcc, 0, v[8:9]
	v_cndmask_b32_e32 v9, v9, v16, vcc
	v_cndmask_b32_e32 v8, v8, v11, vcc
	v_and_b32_e32 v1, v9, v1
	v_and_b32_e32 v0, v8, v0
	v_mul_lo_u32 v1, v1, 24
	v_mul_hi_u32 v5, v0, 24
	v_mul_lo_u32 v0, v0, 24
	v_add_u32_e32 v1, v5, v1
	s_waitcnt vmcnt(0)
	v_add_co_u32_e32 v0, vcc, v14, v0
	v_addc_co_u32_e32 v1, vcc, v15, v1, vcc
	v_mov_b32_e32 v10, v12
	global_store_dwordx2 v[0:1], v[12:13], off
	v_mov_b32_e32 v11, v13
	buffer_wbl2
	s_waitcnt vmcnt(0)
	global_atomic_cmpswap_x2 v[10:11], v4, v[8:11], s[8:9] offset:24 glc
	s_waitcnt vmcnt(0)
	v_cmp_ne_u64_e32 vcc, v[10:11], v[12:13]
	s_and_b64 exec, exec, vcc
	s_cbranch_execz .LBB4_275
.LBB4_274:                              ; =>This Inner Loop Header: Depth=1
	s_sleep 1
	global_store_dwordx2 v[0:1], v[10:11], off
	buffer_wbl2
	s_waitcnt vmcnt(0)
	global_atomic_cmpswap_x2 v[12:13], v4, v[8:11], s[8:9] offset:24 glc
	s_waitcnt vmcnt(0)
	v_cmp_eq_u64_e32 vcc, v[12:13], v[10:11]
	s_or_b64 s[0:1], vcc, s[0:1]
	v_pk_mov_b32 v[10:11], v[12:13], v[12:13] op_sel:[0,1]
	s_andn2_b64 exec, exec, s[0:1]
	s_cbranch_execnz .LBB4_274
.LBB4_275:
	s_or_b64 exec, exec, s[14:15]
.LBB4_276:
	v_readfirstlane_b32 s0, v3
	v_cmp_eq_u32_e64 s[0:1], s0, v3
	v_pk_mov_b32 v[0:1], 0, 0
	s_and_saveexec_b64 s[12:13], s[0:1]
	s_cbranch_execz .LBB4_282
; %bb.277:
	s_waitcnt vmcnt(0)
	v_mov_b32_e32 v4, 0
	global_load_dwordx2 v[10:11], v4, s[8:9] offset:24 glc
	s_waitcnt vmcnt(0)
	buffer_invl2
	buffer_wbinvl1_vol
	global_load_dwordx2 v[0:1], v4, s[8:9] offset:40
	global_load_dwordx2 v[8:9], v4, s[8:9]
	s_waitcnt vmcnt(1)
	v_and_b32_e32 v0, v0, v10
	v_and_b32_e32 v1, v1, v11
	v_mul_lo_u32 v1, v1, 24
	v_mul_hi_u32 v5, v0, 24
	v_mul_lo_u32 v0, v0, 24
	v_add_u32_e32 v1, v5, v1
	s_waitcnt vmcnt(0)
	v_add_co_u32_e32 v0, vcc, v8, v0
	v_addc_co_u32_e32 v1, vcc, v9, v1, vcc
	global_load_dwordx2 v[8:9], v[0:1], off glc
	s_waitcnt vmcnt(0)
	global_atomic_cmpswap_x2 v[0:1], v4, v[8:11], s[8:9] offset:24 glc
	s_waitcnt vmcnt(0)
	buffer_invl2
	buffer_wbinvl1_vol
	v_cmp_ne_u64_e32 vcc, v[0:1], v[10:11]
	s_and_saveexec_b64 s[14:15], vcc
	s_cbranch_execz .LBB4_281
; %bb.278:
	s_mov_b64 s[16:17], 0
.LBB4_279:                              ; =>This Inner Loop Header: Depth=1
	s_sleep 1
	global_load_dwordx2 v[8:9], v4, s[8:9] offset:40
	global_load_dwordx2 v[12:13], v4, s[8:9]
	v_pk_mov_b32 v[10:11], v[0:1], v[0:1] op_sel:[0,1]
	s_waitcnt vmcnt(1)
	v_and_b32_e32 v0, v8, v10
	s_waitcnt vmcnt(0)
	v_mad_u64_u32 v[0:1], s[18:19], v0, 24, v[12:13]
	v_and_b32_e32 v5, v9, v11
	v_mov_b32_e32 v8, v1
	v_mad_u64_u32 v[8:9], s[18:19], v5, 24, v[8:9]
	v_mov_b32_e32 v1, v8
	global_load_dwordx2 v[8:9], v[0:1], off glc
	s_waitcnt vmcnt(0)
	global_atomic_cmpswap_x2 v[0:1], v4, v[8:11], s[8:9] offset:24 glc
	s_waitcnt vmcnt(0)
	buffer_invl2
	buffer_wbinvl1_vol
	v_cmp_eq_u64_e32 vcc, v[0:1], v[10:11]
	s_or_b64 s[16:17], vcc, s[16:17]
	s_andn2_b64 exec, exec, s[16:17]
	s_cbranch_execnz .LBB4_279
; %bb.280:
	s_or_b64 exec, exec, s[16:17]
.LBB4_281:
	s_or_b64 exec, exec, s[14:15]
.LBB4_282:
	s_or_b64 exec, exec, s[12:13]
	s_waitcnt vmcnt(0)
	v_mov_b32_e32 v9, 0
	global_load_dwordx2 v[4:5], v9, s[8:9] offset:40
	global_load_dwordx4 v[10:13], v9, s[8:9]
	v_readfirstlane_b32 s12, v0
	v_readfirstlane_b32 s13, v1
	s_mov_b64 s[14:15], exec
	s_waitcnt vmcnt(1)
	v_readfirstlane_b32 s16, v4
	v_readfirstlane_b32 s17, v5
	s_and_b64 s[16:17], s[12:13], s[16:17]
	s_mul_i32 s18, s17, 24
	s_mul_hi_u32 s19, s16, 24
	s_mul_i32 s20, s16, 24
	s_add_i32 s18, s19, s18
	v_mov_b32_e32 v1, s18
	s_waitcnt vmcnt(0)
	v_add_co_u32_e32 v0, vcc, s20, v10
	v_addc_co_u32_e32 v1, vcc, v11, v1, vcc
	s_and_saveexec_b64 s[18:19], s[0:1]
	s_cbranch_execz .LBB4_284
; %bb.283:
	v_pk_mov_b32 v[14:15], s[14:15], s[14:15] op_sel:[0,1]
	v_mov_b32_e32 v16, 2
	v_mov_b32_e32 v17, 1
	global_store_dwordx4 v[0:1], v[14:17], off offset:8
.LBB4_284:
	s_or_b64 exec, exec, s[18:19]
	s_lshl_b64 s[14:15], s[16:17], 12
	v_mov_b32_e32 v5, s15
	v_add_co_u32_e32 v4, vcc, s14, v12
	v_addc_co_u32_e32 v5, vcc, v13, v5, vcc
	s_movk_i32 s14, 0xff1f
	s_bcnt1_i32_b64 s10, s[10:11]
	s_mov_b32 s16, 0
	v_and_or_b32 v6, v6, s14, 32
	v_add_co_u32_e32 v12, vcc, v4, v36
	v_mov_b32_e32 v8, s10
	v_readfirstlane_b32 s10, v4
	v_readfirstlane_b32 s11, v5
	s_mov_b32 s17, s16
	v_addc_co_u32_e32 v13, vcc, 0, v5, vcc
	s_mov_b32 s18, s16
	s_mov_b32 s19, s16
	s_nop 0
	global_store_dwordx4 v36, v[6:9], s[10:11]
	v_pk_mov_b32 v[4:5], s[16:17], s[16:17] op_sel:[0,1]
	v_pk_mov_b32 v[6:7], s[18:19], s[18:19] op_sel:[0,1]
	global_store_dwordx4 v36, v[4:7], s[10:11] offset:16
	global_store_dwordx4 v36, v[4:7], s[10:11] offset:32
	;; [unrolled: 1-line block ×3, first 2 shown]
	s_and_saveexec_b64 s[10:11], s[0:1]
	s_cbranch_execz .LBB4_292
; %bb.285:
	v_mov_b32_e32 v14, 0
	global_load_dwordx2 v[18:19], v14, s[8:9] offset:32 glc
	global_load_dwordx2 v[4:5], v14, s[8:9] offset:40
	v_mov_b32_e32 v16, s12
	v_mov_b32_e32 v17, s13
	s_waitcnt vmcnt(0)
	v_readfirstlane_b32 s14, v4
	v_readfirstlane_b32 s15, v5
	s_and_b64 s[14:15], s[14:15], s[12:13]
	s_mul_i32 s15, s15, 24
	s_mul_hi_u32 s16, s14, 24
	s_mul_i32 s14, s14, 24
	s_add_i32 s15, s16, s15
	v_mov_b32_e32 v4, s15
	v_add_co_u32_e32 v8, vcc, s14, v10
	v_addc_co_u32_e32 v9, vcc, v11, v4, vcc
	global_store_dwordx2 v[8:9], v[18:19], off
	buffer_wbl2
	s_waitcnt vmcnt(0)
	global_atomic_cmpswap_x2 v[6:7], v14, v[16:19], s[8:9] offset:32 glc
	s_waitcnt vmcnt(0)
	v_cmp_ne_u64_e32 vcc, v[6:7], v[18:19]
	s_and_saveexec_b64 s[14:15], vcc
	s_cbranch_execz .LBB4_288
; %bb.286:
	s_mov_b64 s[16:17], 0
.LBB4_287:                              ; =>This Inner Loop Header: Depth=1
	s_sleep 1
	global_store_dwordx2 v[8:9], v[6:7], off
	v_mov_b32_e32 v4, s12
	v_mov_b32_e32 v5, s13
	buffer_wbl2
	s_waitcnt vmcnt(0)
	global_atomic_cmpswap_x2 v[4:5], v14, v[4:7], s[8:9] offset:32 glc
	s_waitcnt vmcnt(0)
	v_cmp_eq_u64_e32 vcc, v[4:5], v[6:7]
	s_or_b64 s[16:17], vcc, s[16:17]
	v_pk_mov_b32 v[6:7], v[4:5], v[4:5] op_sel:[0,1]
	s_andn2_b64 exec, exec, s[16:17]
	s_cbranch_execnz .LBB4_287
.LBB4_288:
	s_or_b64 exec, exec, s[14:15]
	v_mov_b32_e32 v7, 0
	global_load_dwordx2 v[4:5], v7, s[8:9] offset:16
	s_mov_b64 s[14:15], exec
	v_mbcnt_lo_u32_b32 v6, s14, 0
	v_mbcnt_hi_u32_b32 v6, s15, v6
	v_cmp_eq_u32_e32 vcc, 0, v6
	s_and_saveexec_b64 s[16:17], vcc
	s_cbranch_execz .LBB4_290
; %bb.289:
	s_bcnt1_i32_b64 s14, s[14:15]
	v_mov_b32_e32 v6, s14
	buffer_wbl2
	s_waitcnt vmcnt(0)
	global_atomic_add_x2 v[4:5], v[6:7], off offset:8
.LBB4_290:
	s_or_b64 exec, exec, s[16:17]
	s_waitcnt vmcnt(0)
	global_load_dwordx2 v[6:7], v[4:5], off offset:16
	s_waitcnt vmcnt(0)
	v_cmp_eq_u64_e32 vcc, 0, v[6:7]
	s_cbranch_vccnz .LBB4_292
; %bb.291:
	global_load_dword v4, v[4:5], off offset:24
	v_mov_b32_e32 v5, 0
	buffer_wbl2
	s_waitcnt vmcnt(0)
	global_store_dwordx2 v[6:7], v[4:5], off
	v_and_b32_e32 v4, 0xffffff, v4
	v_readfirstlane_b32 m0, v4
	s_sendmsg sendmsg(MSG_INTERRUPT)
.LBB4_292:
	s_or_b64 exec, exec, s[10:11]
	s_branch .LBB4_296
.LBB4_293:                              ;   in Loop: Header=BB4_296 Depth=1
	s_or_b64 exec, exec, s[10:11]
	v_readfirstlane_b32 s10, v4
	s_cmp_eq_u32 s10, 0
	s_cbranch_scc1 .LBB4_295
; %bb.294:                              ;   in Loop: Header=BB4_296 Depth=1
	s_sleep 1
	s_cbranch_execnz .LBB4_296
	s_branch .LBB4_298
.LBB4_295:
	s_branch .LBB4_298
.LBB4_296:                              ; =>This Inner Loop Header: Depth=1
	v_mov_b32_e32 v4, 1
	s_and_saveexec_b64 s[10:11], s[0:1]
	s_cbranch_execz .LBB4_293
; %bb.297:                              ;   in Loop: Header=BB4_296 Depth=1
	global_load_dword v4, v[0:1], off offset:20 glc
	s_waitcnt vmcnt(0)
	buffer_invl2
	buffer_wbinvl1_vol
	v_and_b32_e32 v4, 1, v4
	s_branch .LBB4_293
.LBB4_298:
	global_load_dwordx2 v[0:1], v[12:13], off
	s_and_saveexec_b64 s[10:11], s[0:1]
	s_cbranch_execz .LBB4_301
; %bb.299:
	v_mov_b32_e32 v10, 0
	global_load_dwordx2 v[8:9], v10, s[8:9] offset:40
	global_load_dwordx2 v[12:13], v10, s[8:9] offset:24 glc
	global_load_dwordx2 v[14:15], v10, s[8:9]
	v_mov_b32_e32 v5, s13
	s_mov_b64 s[0:1], 0
	s_waitcnt vmcnt(2)
	v_add_co_u32_e32 v7, vcc, 1, v8
	v_addc_co_u32_e32 v11, vcc, 0, v9, vcc
	v_add_co_u32_e32 v4, vcc, s12, v7
	v_addc_co_u32_e32 v5, vcc, v11, v5, vcc
	v_cmp_eq_u64_e32 vcc, 0, v[4:5]
	v_cndmask_b32_e32 v5, v5, v11, vcc
	v_cndmask_b32_e32 v4, v4, v7, vcc
	v_and_b32_e32 v7, v5, v9
	v_and_b32_e32 v8, v4, v8
	v_mul_lo_u32 v7, v7, 24
	v_mul_hi_u32 v9, v8, 24
	v_mul_lo_u32 v8, v8, 24
	v_add_u32_e32 v7, v9, v7
	s_waitcnt vmcnt(0)
	v_add_co_u32_e32 v8, vcc, v14, v8
	v_addc_co_u32_e32 v9, vcc, v15, v7, vcc
	v_mov_b32_e32 v6, v12
	global_store_dwordx2 v[8:9], v[12:13], off
	v_mov_b32_e32 v7, v13
	buffer_wbl2
	s_waitcnt vmcnt(0)
	global_atomic_cmpswap_x2 v[6:7], v10, v[4:7], s[8:9] offset:24 glc
	s_waitcnt vmcnt(0)
	v_cmp_ne_u64_e32 vcc, v[6:7], v[12:13]
	s_and_b64 exec, exec, vcc
	s_cbranch_execz .LBB4_301
.LBB4_300:                              ; =>This Inner Loop Header: Depth=1
	s_sleep 1
	global_store_dwordx2 v[8:9], v[6:7], off
	buffer_wbl2
	s_waitcnt vmcnt(0)
	global_atomic_cmpswap_x2 v[12:13], v10, v[4:7], s[8:9] offset:24 glc
	s_waitcnt vmcnt(0)
	v_cmp_eq_u64_e32 vcc, v[12:13], v[6:7]
	s_or_b64 s[0:1], vcc, s[0:1]
	v_pk_mov_b32 v[6:7], v[12:13], v[12:13] op_sel:[0,1]
	s_andn2_b64 exec, exec, s[0:1]
	s_cbranch_execnz .LBB4_300
.LBB4_301:
	s_or_b64 exec, exec, s[10:11]
	v_readfirstlane_b32 s0, v3
	v_cmp_eq_u32_e64 s[0:1], s0, v3
	v_pk_mov_b32 v[8:9], 0, 0
	s_and_saveexec_b64 s[10:11], s[0:1]
	s_cbranch_execz .LBB4_307
; %bb.302:
	v_mov_b32_e32 v3, 0
	global_load_dwordx2 v[6:7], v3, s[8:9] offset:24 glc
	s_waitcnt vmcnt(0)
	buffer_invl2
	buffer_wbinvl1_vol
	global_load_dwordx2 v[4:5], v3, s[8:9] offset:40
	global_load_dwordx2 v[8:9], v3, s[8:9]
	s_waitcnt vmcnt(1)
	v_and_b32_e32 v4, v4, v6
	v_and_b32_e32 v5, v5, v7
	v_mul_lo_u32 v5, v5, 24
	v_mul_hi_u32 v10, v4, 24
	v_mul_lo_u32 v4, v4, 24
	v_add_u32_e32 v5, v10, v5
	s_waitcnt vmcnt(0)
	v_add_co_u32_e32 v4, vcc, v8, v4
	v_addc_co_u32_e32 v5, vcc, v9, v5, vcc
	global_load_dwordx2 v[4:5], v[4:5], off glc
	s_waitcnt vmcnt(0)
	global_atomic_cmpswap_x2 v[8:9], v3, v[4:7], s[8:9] offset:24 glc
	s_waitcnt vmcnt(0)
	buffer_invl2
	buffer_wbinvl1_vol
	v_cmp_ne_u64_e32 vcc, v[8:9], v[6:7]
	s_and_saveexec_b64 s[12:13], vcc
	s_cbranch_execz .LBB4_306
; %bb.303:
	s_mov_b64 s[14:15], 0
.LBB4_304:                              ; =>This Inner Loop Header: Depth=1
	s_sleep 1
	global_load_dwordx2 v[4:5], v3, s[8:9] offset:40
	global_load_dwordx2 v[10:11], v3, s[8:9]
	v_pk_mov_b32 v[6:7], v[8:9], v[8:9] op_sel:[0,1]
	s_waitcnt vmcnt(1)
	v_and_b32_e32 v4, v4, v6
	v_and_b32_e32 v9, v5, v7
	s_waitcnt vmcnt(0)
	v_mad_u64_u32 v[4:5], s[16:17], v4, 24, v[10:11]
	v_mov_b32_e32 v8, v5
	v_mad_u64_u32 v[8:9], s[16:17], v9, 24, v[8:9]
	v_mov_b32_e32 v5, v8
	global_load_dwordx2 v[4:5], v[4:5], off glc
	s_waitcnt vmcnt(0)
	global_atomic_cmpswap_x2 v[8:9], v3, v[4:7], s[8:9] offset:24 glc
	s_waitcnt vmcnt(0)
	buffer_invl2
	buffer_wbinvl1_vol
	v_cmp_eq_u64_e32 vcc, v[8:9], v[6:7]
	s_or_b64 s[14:15], vcc, s[14:15]
	s_andn2_b64 exec, exec, s[14:15]
	s_cbranch_execnz .LBB4_304
; %bb.305:
	s_or_b64 exec, exec, s[14:15]
.LBB4_306:
	s_or_b64 exec, exec, s[12:13]
.LBB4_307:
	s_or_b64 exec, exec, s[10:11]
	v_mov_b32_e32 v3, 0
	global_load_dwordx2 v[10:11], v3, s[8:9] offset:40
	global_load_dwordx4 v[4:7], v3, s[8:9]
	v_readfirstlane_b32 s10, v8
	v_readfirstlane_b32 s11, v9
	s_mov_b64 s[12:13], exec
	s_waitcnt vmcnt(1)
	v_readfirstlane_b32 s14, v10
	v_readfirstlane_b32 s15, v11
	s_and_b64 s[14:15], s[10:11], s[14:15]
	s_mul_i32 s16, s15, 24
	s_mul_hi_u32 s17, s14, 24
	s_mul_i32 s18, s14, 24
	s_add_i32 s16, s17, s16
	v_mov_b32_e32 v9, s16
	s_waitcnt vmcnt(0)
	v_add_co_u32_e32 v8, vcc, s18, v4
	v_addc_co_u32_e32 v9, vcc, v5, v9, vcc
	s_and_saveexec_b64 s[16:17], s[0:1]
	s_cbranch_execz .LBB4_309
; %bb.308:
	v_pk_mov_b32 v[10:11], s[12:13], s[12:13] op_sel:[0,1]
	v_mov_b32_e32 v12, 2
	v_mov_b32_e32 v13, 1
	global_store_dwordx4 v[8:9], v[10:13], off offset:8
.LBB4_309:
	s_or_b64 exec, exec, s[16:17]
	s_lshl_b64 s[12:13], s[14:15], 12
	v_mov_b32_e32 v10, s13
	v_add_co_u32_e32 v6, vcc, s12, v6
	s_movk_i32 s12, 0xff1d
	v_addc_co_u32_e32 v7, vcc, v7, v10, vcc
	v_and_or_b32 v0, v0, s12, 34
	s_mov_b32 s12, 0
	v_readfirstlane_b32 s16, v6
	v_readfirstlane_b32 s17, v7
	s_mov_b32 s13, s12
	s_mov_b32 s14, s12
	s_mov_b32 s15, s12
	s_nop 1
	global_store_dwordx4 v36, v[0:3], s[16:17]
	s_nop 0
	v_pk_mov_b32 v[0:1], s[12:13], s[12:13] op_sel:[0,1]
	v_pk_mov_b32 v[2:3], s[14:15], s[14:15] op_sel:[0,1]
	global_store_dwordx4 v36, v[0:3], s[16:17] offset:16
	global_store_dwordx4 v36, v[0:3], s[16:17] offset:32
	global_store_dwordx4 v36, v[0:3], s[16:17] offset:48
	s_and_saveexec_b64 s[12:13], s[0:1]
	s_cbranch_execz .LBB4_317
; %bb.310:
	v_mov_b32_e32 v6, 0
	global_load_dwordx2 v[12:13], v6, s[8:9] offset:32 glc
	global_load_dwordx2 v[0:1], v6, s[8:9] offset:40
	v_mov_b32_e32 v10, s10
	v_mov_b32_e32 v11, s11
	s_waitcnt vmcnt(0)
	v_readfirstlane_b32 s14, v0
	v_readfirstlane_b32 s15, v1
	s_and_b64 s[14:15], s[14:15], s[10:11]
	s_mul_i32 s15, s15, 24
	s_mul_hi_u32 s16, s14, 24
	s_mul_i32 s14, s14, 24
	s_add_i32 s15, s16, s15
	v_mov_b32_e32 v0, s15
	v_add_co_u32_e32 v4, vcc, s14, v4
	v_addc_co_u32_e32 v5, vcc, v5, v0, vcc
	global_store_dwordx2 v[4:5], v[12:13], off
	buffer_wbl2
	s_waitcnt vmcnt(0)
	global_atomic_cmpswap_x2 v[2:3], v6, v[10:13], s[8:9] offset:32 glc
	s_waitcnt vmcnt(0)
	v_cmp_ne_u64_e32 vcc, v[2:3], v[12:13]
	s_and_saveexec_b64 s[14:15], vcc
	s_cbranch_execz .LBB4_313
; %bb.311:
	s_mov_b64 s[16:17], 0
.LBB4_312:                              ; =>This Inner Loop Header: Depth=1
	s_sleep 1
	global_store_dwordx2 v[4:5], v[2:3], off
	v_mov_b32_e32 v0, s10
	v_mov_b32_e32 v1, s11
	buffer_wbl2
	s_waitcnt vmcnt(0)
	global_atomic_cmpswap_x2 v[0:1], v6, v[0:3], s[8:9] offset:32 glc
	s_waitcnt vmcnt(0)
	v_cmp_eq_u64_e32 vcc, v[0:1], v[2:3]
	s_or_b64 s[16:17], vcc, s[16:17]
	v_pk_mov_b32 v[2:3], v[0:1], v[0:1] op_sel:[0,1]
	s_andn2_b64 exec, exec, s[16:17]
	s_cbranch_execnz .LBB4_312
.LBB4_313:
	s_or_b64 exec, exec, s[14:15]
	v_mov_b32_e32 v3, 0
	global_load_dwordx2 v[0:1], v3, s[8:9] offset:16
	s_mov_b64 s[14:15], exec
	v_mbcnt_lo_u32_b32 v2, s14, 0
	v_mbcnt_hi_u32_b32 v2, s15, v2
	v_cmp_eq_u32_e32 vcc, 0, v2
	s_and_saveexec_b64 s[16:17], vcc
	s_cbranch_execz .LBB4_315
; %bb.314:
	s_bcnt1_i32_b64 s14, s[14:15]
	v_mov_b32_e32 v2, s14
	buffer_wbl2
	s_waitcnt vmcnt(0)
	global_atomic_add_x2 v[0:1], v[2:3], off offset:8
.LBB4_315:
	s_or_b64 exec, exec, s[16:17]
	s_waitcnt vmcnt(0)
	global_load_dwordx2 v[2:3], v[0:1], off offset:16
	s_waitcnt vmcnt(0)
	v_cmp_eq_u64_e32 vcc, 0, v[2:3]
	s_cbranch_vccnz .LBB4_317
; %bb.316:
	global_load_dword v0, v[0:1], off offset:24
	v_mov_b32_e32 v1, 0
	buffer_wbl2
	s_waitcnt vmcnt(0)
	global_store_dwordx2 v[2:3], v[0:1], off
	v_and_b32_e32 v0, 0xffffff, v0
	v_readfirstlane_b32 m0, v0
	s_sendmsg sendmsg(MSG_INTERRUPT)
.LBB4_317:
	s_or_b64 exec, exec, s[12:13]
	s_branch .LBB4_321
.LBB4_318:                              ;   in Loop: Header=BB4_321 Depth=1
	s_or_b64 exec, exec, s[12:13]
	v_readfirstlane_b32 s12, v0
	s_cmp_eq_u32 s12, 0
	s_cbranch_scc1 .LBB4_320
; %bb.319:                              ;   in Loop: Header=BB4_321 Depth=1
	s_sleep 1
	s_cbranch_execnz .LBB4_321
	s_branch .LBB4_323
.LBB4_320:
	s_branch .LBB4_323
.LBB4_321:                              ; =>This Inner Loop Header: Depth=1
	v_mov_b32_e32 v0, 1
	s_and_saveexec_b64 s[12:13], s[0:1]
	s_cbranch_execz .LBB4_318
; %bb.322:                              ;   in Loop: Header=BB4_321 Depth=1
	global_load_dword v0, v[8:9], off offset:20 glc
	s_waitcnt vmcnt(0)
	buffer_invl2
	buffer_wbinvl1_vol
	v_and_b32_e32 v0, 1, v0
	s_branch .LBB4_318
.LBB4_323:
	s_and_b64 exec, exec, s[0:1]
	s_cbranch_execz .LBB4_326
; %bb.324:
	v_mov_b32_e32 v6, 0
	global_load_dwordx2 v[4:5], v6, s[8:9] offset:40
	global_load_dwordx2 v[8:9], v6, s[8:9] offset:24 glc
	global_load_dwordx2 v[10:11], v6, s[8:9]
	v_mov_b32_e32 v1, s11
	s_mov_b64 s[0:1], 0
	s_waitcnt vmcnt(2)
	v_add_co_u32_e32 v3, vcc, 1, v4
	v_addc_co_u32_e32 v7, vcc, 0, v5, vcc
	v_add_co_u32_e32 v0, vcc, s10, v3
	v_addc_co_u32_e32 v1, vcc, v7, v1, vcc
	v_cmp_eq_u64_e32 vcc, 0, v[0:1]
	v_cndmask_b32_e32 v1, v1, v7, vcc
	v_cndmask_b32_e32 v0, v0, v3, vcc
	v_and_b32_e32 v3, v1, v5
	v_and_b32_e32 v4, v0, v4
	v_mul_lo_u32 v3, v3, 24
	v_mul_hi_u32 v5, v4, 24
	v_mul_lo_u32 v4, v4, 24
	v_add_u32_e32 v3, v5, v3
	s_waitcnt vmcnt(0)
	v_add_co_u32_e32 v4, vcc, v10, v4
	v_addc_co_u32_e32 v5, vcc, v11, v3, vcc
	v_mov_b32_e32 v2, v8
	global_store_dwordx2 v[4:5], v[8:9], off
	v_mov_b32_e32 v3, v9
	buffer_wbl2
	s_waitcnt vmcnt(0)
	global_atomic_cmpswap_x2 v[2:3], v6, v[0:3], s[8:9] offset:24 glc
	s_waitcnt vmcnt(0)
	v_cmp_ne_u64_e32 vcc, v[2:3], v[8:9]
	s_and_b64 exec, exec, vcc
	s_cbranch_execz .LBB4_326
.LBB4_325:                              ; =>This Inner Loop Header: Depth=1
	s_sleep 1
	global_store_dwordx2 v[4:5], v[2:3], off
	buffer_wbl2
	s_waitcnt vmcnt(0)
	global_atomic_cmpswap_x2 v[8:9], v6, v[0:3], s[8:9] offset:24 glc
	s_waitcnt vmcnt(0)
	v_cmp_eq_u64_e32 vcc, v[8:9], v[2:3]
	s_or_b64 s[0:1], vcc, s[0:1]
	v_pk_mov_b32 v[2:3], v[8:9], v[8:9] op_sel:[0,1]
	s_andn2_b64 exec, exec, s[0:1]
	s_cbranch_execnz .LBB4_325
.LBB4_326:
	s_or_b64 exec, exec, s[6:7]
                                        ; implicit-def: $vgpr2_vgpr3
.LBB4_327:
	s_andn2_saveexec_b64 s[0:1], s[2:3]
	s_cbranch_execz .LBB4_516
; %bb.328:
	s_mov_b64 s[6:7], exec
	v_mbcnt_lo_u32_b32 v0, s6, 0
	v_mbcnt_hi_u32_b32 v0, s7, v0
	v_cmp_eq_u32_e32 vcc, 0, v0
	s_and_saveexec_b64 s[0:1], vcc
	s_cbranch_execz .LBB4_516
; %bb.329:
	s_load_dwordx2 s[2:3], s[4:5], 0x50
	v_mbcnt_lo_u32_b32 v0, -1, 0
	v_mbcnt_hi_u32_b32 v3, -1, v0
	v_readfirstlane_b32 s0, v3
	v_cmp_eq_u32_e64 s[0:1], s0, v3
	v_pk_mov_b32 v[0:1], 0, 0
	s_and_saveexec_b64 s[4:5], s[0:1]
	s_cbranch_execz .LBB4_335
; %bb.330:
	s_waitcnt vmcnt(0)
	v_mov_b32_e32 v4, 0
	s_waitcnt lgkmcnt(0)
	global_load_dwordx2 v[8:9], v4, s[2:3] offset:24 glc
	s_waitcnt vmcnt(0)
	buffer_invl2
	buffer_wbinvl1_vol
	global_load_dwordx2 v[0:1], v4, s[2:3] offset:40
	global_load_dwordx2 v[6:7], v4, s[2:3]
	s_waitcnt vmcnt(1)
	v_and_b32_e32 v0, v0, v8
	v_and_b32_e32 v1, v1, v9
	v_mul_lo_u32 v1, v1, 24
	v_mul_hi_u32 v5, v0, 24
	v_mul_lo_u32 v0, v0, 24
	v_add_u32_e32 v1, v5, v1
	s_waitcnt vmcnt(0)
	v_add_co_u32_e32 v0, vcc, v6, v0
	v_addc_co_u32_e32 v1, vcc, v7, v1, vcc
	global_load_dwordx2 v[6:7], v[0:1], off glc
	s_waitcnt vmcnt(0)
	global_atomic_cmpswap_x2 v[0:1], v4, v[6:9], s[2:3] offset:24 glc
	s_waitcnt vmcnt(0)
	buffer_invl2
	buffer_wbinvl1_vol
	v_cmp_ne_u64_e32 vcc, v[0:1], v[8:9]
	s_and_saveexec_b64 s[8:9], vcc
	s_cbranch_execz .LBB4_334
; %bb.331:
	s_mov_b64 s[10:11], 0
.LBB4_332:                              ; =>This Inner Loop Header: Depth=1
	s_sleep 1
	global_load_dwordx2 v[6:7], v4, s[2:3] offset:40
	global_load_dwordx2 v[10:11], v4, s[2:3]
	v_pk_mov_b32 v[8:9], v[0:1], v[0:1] op_sel:[0,1]
	s_waitcnt vmcnt(1)
	v_and_b32_e32 v0, v6, v8
	s_waitcnt vmcnt(0)
	v_mad_u64_u32 v[0:1], s[12:13], v0, 24, v[10:11]
	v_and_b32_e32 v5, v7, v9
	v_mov_b32_e32 v6, v1
	v_mad_u64_u32 v[6:7], s[12:13], v5, 24, v[6:7]
	v_mov_b32_e32 v1, v6
	global_load_dwordx2 v[6:7], v[0:1], off glc
	s_waitcnt vmcnt(0)
	global_atomic_cmpswap_x2 v[0:1], v4, v[6:9], s[2:3] offset:24 glc
	s_waitcnt vmcnt(0)
	buffer_invl2
	buffer_wbinvl1_vol
	v_cmp_eq_u64_e32 vcc, v[0:1], v[8:9]
	s_or_b64 s[10:11], vcc, s[10:11]
	s_andn2_b64 exec, exec, s[10:11]
	s_cbranch_execnz .LBB4_332
; %bb.333:
	s_or_b64 exec, exec, s[10:11]
.LBB4_334:
	s_or_b64 exec, exec, s[8:9]
.LBB4_335:
	s_or_b64 exec, exec, s[4:5]
	v_mov_b32_e32 v9, 0
	s_waitcnt lgkmcnt(0)
	global_load_dwordx2 v[10:11], v9, s[2:3] offset:40
	global_load_dwordx4 v[4:7], v9, s[2:3]
	v_readfirstlane_b32 s4, v0
	v_readfirstlane_b32 s5, v1
	s_mov_b64 s[8:9], exec
	s_waitcnt vmcnt(1)
	v_readfirstlane_b32 s10, v10
	v_readfirstlane_b32 s11, v11
	s_and_b64 s[10:11], s[4:5], s[10:11]
	s_mul_i32 s12, s11, 24
	s_mul_hi_u32 s13, s10, 24
	s_mul_i32 s14, s10, 24
	s_add_i32 s12, s13, s12
	v_mov_b32_e32 v1, s12
	s_waitcnt vmcnt(0)
	v_add_co_u32_e32 v0, vcc, s14, v4
	v_addc_co_u32_e32 v1, vcc, v5, v1, vcc
	s_and_saveexec_b64 s[12:13], s[0:1]
	s_cbranch_execz .LBB4_337
; %bb.336:
	v_pk_mov_b32 v[10:11], s[8:9], s[8:9] op_sel:[0,1]
	v_mov_b32_e32 v12, 2
	v_mov_b32_e32 v13, 1
	global_store_dwordx4 v[0:1], v[10:13], off offset:8
.LBB4_337:
	s_or_b64 exec, exec, s[12:13]
	s_lshl_b64 s[8:9], s[10:11], 12
	v_mov_b32_e32 v8, s9
	v_add_co_u32_e32 v6, vcc, s8, v6
	v_addc_co_u32_e32 v7, vcc, v7, v8, vcc
	s_mov_b32 s8, 0
	v_lshlrev_b32_e32 v36, 6, v3
	v_add_co_u32_e32 v12, vcc, v6, v36
	v_mov_b32_e32 v8, 33
	v_mov_b32_e32 v10, v9
	;; [unrolled: 1-line block ×3, first 2 shown]
	v_readfirstlane_b32 s12, v6
	v_readfirstlane_b32 s13, v7
	s_mov_b32 s9, s8
	v_addc_co_u32_e32 v13, vcc, 0, v7, vcc
	s_mov_b32 s10, s8
	s_mov_b32 s11, s8
	s_nop 0
	global_store_dwordx4 v36, v[8:11], s[12:13]
	v_pk_mov_b32 v[6:7], s[8:9], s[8:9] op_sel:[0,1]
	v_pk_mov_b32 v[8:9], s[10:11], s[10:11] op_sel:[0,1]
	global_store_dwordx4 v36, v[6:9], s[12:13] offset:16
	global_store_dwordx4 v36, v[6:9], s[12:13] offset:32
	;; [unrolled: 1-line block ×3, first 2 shown]
	s_and_saveexec_b64 s[8:9], s[0:1]
	s_cbranch_execz .LBB4_345
; %bb.338:
	v_mov_b32_e32 v10, 0
	global_load_dwordx2 v[16:17], v10, s[2:3] offset:32 glc
	global_load_dwordx2 v[6:7], v10, s[2:3] offset:40
	v_mov_b32_e32 v14, s4
	v_mov_b32_e32 v15, s5
	s_waitcnt vmcnt(0)
	v_and_b32_e32 v6, s4, v6
	v_and_b32_e32 v7, s5, v7
	v_mul_lo_u32 v7, v7, 24
	v_mul_hi_u32 v8, v6, 24
	v_mul_lo_u32 v6, v6, 24
	v_add_u32_e32 v7, v8, v7
	v_add_co_u32_e32 v8, vcc, v4, v6
	v_addc_co_u32_e32 v9, vcc, v5, v7, vcc
	global_store_dwordx2 v[8:9], v[16:17], off
	buffer_wbl2
	s_waitcnt vmcnt(0)
	global_atomic_cmpswap_x2 v[6:7], v10, v[14:17], s[2:3] offset:32 glc
	s_waitcnt vmcnt(0)
	v_cmp_ne_u64_e32 vcc, v[6:7], v[16:17]
	s_and_saveexec_b64 s[10:11], vcc
	s_cbranch_execz .LBB4_341
; %bb.339:
	s_mov_b64 s[12:13], 0
.LBB4_340:                              ; =>This Inner Loop Header: Depth=1
	s_sleep 1
	global_store_dwordx2 v[8:9], v[6:7], off
	v_mov_b32_e32 v4, s4
	v_mov_b32_e32 v5, s5
	buffer_wbl2
	s_waitcnt vmcnt(0)
	global_atomic_cmpswap_x2 v[4:5], v10, v[4:7], s[2:3] offset:32 glc
	s_waitcnt vmcnt(0)
	v_cmp_eq_u64_e32 vcc, v[4:5], v[6:7]
	s_or_b64 s[12:13], vcc, s[12:13]
	v_pk_mov_b32 v[6:7], v[4:5], v[4:5] op_sel:[0,1]
	s_andn2_b64 exec, exec, s[12:13]
	s_cbranch_execnz .LBB4_340
.LBB4_341:
	s_or_b64 exec, exec, s[10:11]
	v_mov_b32_e32 v7, 0
	global_load_dwordx2 v[4:5], v7, s[2:3] offset:16
	s_mov_b64 s[10:11], exec
	v_mbcnt_lo_u32_b32 v6, s10, 0
	v_mbcnt_hi_u32_b32 v6, s11, v6
	v_cmp_eq_u32_e32 vcc, 0, v6
	s_and_saveexec_b64 s[12:13], vcc
	s_cbranch_execz .LBB4_343
; %bb.342:
	s_bcnt1_i32_b64 s10, s[10:11]
	v_mov_b32_e32 v6, s10
	buffer_wbl2
	s_waitcnt vmcnt(0)
	global_atomic_add_x2 v[4:5], v[6:7], off offset:8
.LBB4_343:
	s_or_b64 exec, exec, s[12:13]
	s_waitcnt vmcnt(0)
	global_load_dwordx2 v[6:7], v[4:5], off offset:16
	s_waitcnt vmcnt(0)
	v_cmp_eq_u64_e32 vcc, 0, v[6:7]
	s_cbranch_vccnz .LBB4_345
; %bb.344:
	global_load_dword v4, v[4:5], off offset:24
	v_mov_b32_e32 v5, 0
	buffer_wbl2
	s_waitcnt vmcnt(0)
	global_store_dwordx2 v[6:7], v[4:5], off
	v_and_b32_e32 v4, 0xffffff, v4
	v_readfirstlane_b32 m0, v4
	s_sendmsg sendmsg(MSG_INTERRUPT)
.LBB4_345:
	s_or_b64 exec, exec, s[8:9]
	s_branch .LBB4_349
.LBB4_346:                              ;   in Loop: Header=BB4_349 Depth=1
	s_or_b64 exec, exec, s[8:9]
	v_readfirstlane_b32 s8, v4
	s_cmp_eq_u32 s8, 0
	s_cbranch_scc1 .LBB4_348
; %bb.347:                              ;   in Loop: Header=BB4_349 Depth=1
	s_sleep 1
	s_cbranch_execnz .LBB4_349
	s_branch .LBB4_351
.LBB4_348:
	s_branch .LBB4_351
.LBB4_349:                              ; =>This Inner Loop Header: Depth=1
	v_mov_b32_e32 v4, 1
	s_and_saveexec_b64 s[8:9], s[0:1]
	s_cbranch_execz .LBB4_346
; %bb.350:                              ;   in Loop: Header=BB4_349 Depth=1
	global_load_dword v4, v[0:1], off offset:20 glc
	s_waitcnt vmcnt(0)
	buffer_invl2
	buffer_wbinvl1_vol
	v_and_b32_e32 v4, 1, v4
	s_branch .LBB4_346
.LBB4_351:
	global_load_dwordx2 v[4:5], v[12:13], off
	s_and_saveexec_b64 s[8:9], s[0:1]
	s_cbranch_execz .LBB4_354
; %bb.352:
	v_mov_b32_e32 v10, 0
	global_load_dwordx2 v[0:1], v10, s[2:3] offset:40
	global_load_dwordx2 v[12:13], v10, s[2:3] offset:24 glc
	global_load_dwordx2 v[14:15], v10, s[2:3]
	v_mov_b32_e32 v7, s5
	s_mov_b64 s[0:1], 0
	s_waitcnt vmcnt(2)
	v_add_co_u32_e32 v9, vcc, 1, v0
	v_addc_co_u32_e32 v11, vcc, 0, v1, vcc
	v_add_co_u32_e32 v6, vcc, s4, v9
	v_addc_co_u32_e32 v7, vcc, v11, v7, vcc
	v_cmp_eq_u64_e32 vcc, 0, v[6:7]
	v_cndmask_b32_e32 v7, v7, v11, vcc
	v_cndmask_b32_e32 v6, v6, v9, vcc
	v_and_b32_e32 v1, v7, v1
	v_and_b32_e32 v0, v6, v0
	v_mul_lo_u32 v1, v1, 24
	v_mul_hi_u32 v9, v0, 24
	v_mul_lo_u32 v0, v0, 24
	v_add_u32_e32 v1, v9, v1
	s_waitcnt vmcnt(0)
	v_add_co_u32_e32 v0, vcc, v14, v0
	v_addc_co_u32_e32 v1, vcc, v15, v1, vcc
	v_mov_b32_e32 v8, v12
	global_store_dwordx2 v[0:1], v[12:13], off
	v_mov_b32_e32 v9, v13
	buffer_wbl2
	s_waitcnt vmcnt(0)
	global_atomic_cmpswap_x2 v[8:9], v10, v[6:9], s[2:3] offset:24 glc
	s_waitcnt vmcnt(0)
	v_cmp_ne_u64_e32 vcc, v[8:9], v[12:13]
	s_and_b64 exec, exec, vcc
	s_cbranch_execz .LBB4_354
.LBB4_353:                              ; =>This Inner Loop Header: Depth=1
	s_sleep 1
	global_store_dwordx2 v[0:1], v[8:9], off
	buffer_wbl2
	s_waitcnt vmcnt(0)
	global_atomic_cmpswap_x2 v[12:13], v10, v[6:9], s[2:3] offset:24 glc
	s_waitcnt vmcnt(0)
	v_cmp_eq_u64_e32 vcc, v[12:13], v[8:9]
	s_or_b64 s[0:1], vcc, s[0:1]
	v_pk_mov_b32 v[8:9], v[12:13], v[12:13] op_sel:[0,1]
	s_andn2_b64 exec, exec, s[0:1]
	s_cbranch_execnz .LBB4_353
.LBB4_354:
	s_or_b64 exec, exec, s[8:9]
	s_getpc_b64 s[4:5]
	s_add_u32 s4, s4, .str.5@rel32@lo+4
	s_addc_u32 s5, s5, .str.5@rel32@hi+12
	s_cmp_lg_u64 s[4:5], 0
	s_cbranch_scc0 .LBB4_439
; %bb.355:
	s_waitcnt vmcnt(0)
	v_and_b32_e32 v0, 2, v4
	v_mov_b32_e32 v33, 0
	v_and_b32_e32 v6, -3, v4
	v_mov_b32_e32 v7, v5
	s_mov_b64 s[8:9], 0x59
	v_mov_b32_e32 v10, 2
	v_mov_b32_e32 v11, 1
	s_branch .LBB4_357
.LBB4_356:                              ;   in Loop: Header=BB4_357 Depth=1
	s_or_b64 exec, exec, s[14:15]
	s_sub_u32 s8, s8, s10
	s_subb_u32 s9, s9, s11
	s_add_u32 s4, s4, s10
	s_addc_u32 s5, s5, s11
	s_cmp_lg_u64 s[8:9], 0
	s_cbranch_scc0 .LBB4_438
.LBB4_357:                              ; =>This Loop Header: Depth=1
                                        ;     Child Loop BB4_360 Depth 2
                                        ;     Child Loop BB4_367 Depth 2
	;; [unrolled: 1-line block ×11, first 2 shown]
	v_cmp_lt_u64_e64 s[0:1], s[8:9], 56
	s_and_b64 s[0:1], s[0:1], exec
	v_cmp_gt_u64_e64 s[0:1], s[8:9], 7
	s_cselect_b32 s11, s9, 0
	s_cselect_b32 s10, s8, 56
	s_and_b64 vcc, exec, s[0:1]
	s_cbranch_vccnz .LBB4_362
; %bb.358:                              ;   in Loop: Header=BB4_357 Depth=1
	s_mov_b64 s[0:1], 0
	s_cmp_eq_u64 s[8:9], 0
	v_pk_mov_b32 v[14:15], 0, 0
	s_cbranch_scc1 .LBB4_361
; %bb.359:                              ;   in Loop: Header=BB4_357 Depth=1
	s_lshl_b64 s[12:13], s[10:11], 3
	s_mov_b64 s[14:15], 0
	v_pk_mov_b32 v[14:15], 0, 0
	s_mov_b64 s[16:17], s[4:5]
.LBB4_360:                              ;   Parent Loop BB4_357 Depth=1
                                        ; =>  This Inner Loop Header: Depth=2
	global_load_ubyte v1, v33, s[16:17]
	s_waitcnt vmcnt(0)
	v_and_b32_e32 v32, 0xffff, v1
	v_lshlrev_b64 v[8:9], s14, v[32:33]
	s_add_u32 s14, s14, 8
	s_addc_u32 s15, s15, 0
	s_add_u32 s16, s16, 1
	s_addc_u32 s17, s17, 0
	v_or_b32_e32 v14, v8, v14
	s_cmp_lg_u32 s12, s14
	v_or_b32_e32 v15, v9, v15
	s_cbranch_scc1 .LBB4_360
.LBB4_361:                              ;   in Loop: Header=BB4_357 Depth=1
	s_mov_b32 s16, 0
	s_andn2_b64 vcc, exec, s[0:1]
	s_mov_b64 s[0:1], s[4:5]
	s_cbranch_vccz .LBB4_363
	s_branch .LBB4_364
.LBB4_362:                              ;   in Loop: Header=BB4_357 Depth=1
                                        ; implicit-def: $vgpr14_vgpr15
                                        ; implicit-def: $sgpr16
	s_mov_b64 s[0:1], s[4:5]
.LBB4_363:                              ;   in Loop: Header=BB4_357 Depth=1
	global_load_dwordx2 v[14:15], v33, s[4:5]
	s_add_i32 s16, s10, -8
	s_add_u32 s0, s4, 8
	s_addc_u32 s1, s5, 0
.LBB4_364:                              ;   in Loop: Header=BB4_357 Depth=1
	s_cmp_gt_u32 s16, 7
	s_cbranch_scc1 .LBB4_368
; %bb.365:                              ;   in Loop: Header=BB4_357 Depth=1
	s_cmp_eq_u32 s16, 0
	s_cbranch_scc1 .LBB4_369
; %bb.366:                              ;   in Loop: Header=BB4_357 Depth=1
	s_mov_b64 s[12:13], 0
	v_pk_mov_b32 v[16:17], 0, 0
	s_mov_b64 s[14:15], 0
.LBB4_367:                              ;   Parent Loop BB4_357 Depth=1
                                        ; =>  This Inner Loop Header: Depth=2
	s_add_u32 s18, s0, s14
	s_addc_u32 s19, s1, s15
	global_load_ubyte v1, v33, s[18:19]
	s_add_u32 s14, s14, 1
	s_addc_u32 s15, s15, 0
	s_waitcnt vmcnt(0)
	v_and_b32_e32 v32, 0xffff, v1
	v_lshlrev_b64 v[8:9], s12, v[32:33]
	s_add_u32 s12, s12, 8
	s_addc_u32 s13, s13, 0
	v_or_b32_e32 v16, v8, v16
	s_cmp_lg_u32 s16, s14
	v_or_b32_e32 v17, v9, v17
	s_cbranch_scc1 .LBB4_367
	s_branch .LBB4_370
.LBB4_368:                              ;   in Loop: Header=BB4_357 Depth=1
                                        ; implicit-def: $vgpr16_vgpr17
                                        ; implicit-def: $sgpr17
	s_branch .LBB4_371
.LBB4_369:                              ;   in Loop: Header=BB4_357 Depth=1
	v_pk_mov_b32 v[16:17], 0, 0
.LBB4_370:                              ;   in Loop: Header=BB4_357 Depth=1
	s_mov_b32 s17, 0
	s_cbranch_execnz .LBB4_372
.LBB4_371:                              ;   in Loop: Header=BB4_357 Depth=1
	global_load_dwordx2 v[16:17], v33, s[0:1]
	s_add_i32 s17, s16, -8
	s_add_u32 s0, s0, 8
	s_addc_u32 s1, s1, 0
.LBB4_372:                              ;   in Loop: Header=BB4_357 Depth=1
	s_cmp_gt_u32 s17, 7
	s_cbranch_scc1 .LBB4_376
; %bb.373:                              ;   in Loop: Header=BB4_357 Depth=1
	s_cmp_eq_u32 s17, 0
	s_cbranch_scc1 .LBB4_377
; %bb.374:                              ;   in Loop: Header=BB4_357 Depth=1
	s_mov_b64 s[12:13], 0
	v_pk_mov_b32 v[18:19], 0, 0
	s_mov_b64 s[14:15], 0
.LBB4_375:                              ;   Parent Loop BB4_357 Depth=1
                                        ; =>  This Inner Loop Header: Depth=2
	s_add_u32 s18, s0, s14
	s_addc_u32 s19, s1, s15
	global_load_ubyte v1, v33, s[18:19]
	s_add_u32 s14, s14, 1
	s_addc_u32 s15, s15, 0
	s_waitcnt vmcnt(0)
	v_and_b32_e32 v32, 0xffff, v1
	v_lshlrev_b64 v[8:9], s12, v[32:33]
	s_add_u32 s12, s12, 8
	s_addc_u32 s13, s13, 0
	v_or_b32_e32 v18, v8, v18
	s_cmp_lg_u32 s17, s14
	v_or_b32_e32 v19, v9, v19
	s_cbranch_scc1 .LBB4_375
	s_branch .LBB4_378
.LBB4_376:                              ;   in Loop: Header=BB4_357 Depth=1
                                        ; implicit-def: $sgpr16
	s_branch .LBB4_379
.LBB4_377:                              ;   in Loop: Header=BB4_357 Depth=1
	v_pk_mov_b32 v[18:19], 0, 0
.LBB4_378:                              ;   in Loop: Header=BB4_357 Depth=1
	s_mov_b32 s16, 0
	s_cbranch_execnz .LBB4_380
.LBB4_379:                              ;   in Loop: Header=BB4_357 Depth=1
	global_load_dwordx2 v[18:19], v33, s[0:1]
	s_add_i32 s16, s17, -8
	s_add_u32 s0, s0, 8
	s_addc_u32 s1, s1, 0
.LBB4_380:                              ;   in Loop: Header=BB4_357 Depth=1
	s_cmp_gt_u32 s16, 7
	s_cbranch_scc1 .LBB4_384
; %bb.381:                              ;   in Loop: Header=BB4_357 Depth=1
	s_cmp_eq_u32 s16, 0
	s_cbranch_scc1 .LBB4_385
; %bb.382:                              ;   in Loop: Header=BB4_357 Depth=1
	s_mov_b64 s[12:13], 0
	v_pk_mov_b32 v[20:21], 0, 0
	s_mov_b64 s[14:15], 0
.LBB4_383:                              ;   Parent Loop BB4_357 Depth=1
                                        ; =>  This Inner Loop Header: Depth=2
	s_add_u32 s18, s0, s14
	s_addc_u32 s19, s1, s15
	global_load_ubyte v1, v33, s[18:19]
	s_add_u32 s14, s14, 1
	s_addc_u32 s15, s15, 0
	s_waitcnt vmcnt(0)
	v_and_b32_e32 v32, 0xffff, v1
	v_lshlrev_b64 v[8:9], s12, v[32:33]
	s_add_u32 s12, s12, 8
	s_addc_u32 s13, s13, 0
	v_or_b32_e32 v20, v8, v20
	s_cmp_lg_u32 s16, s14
	v_or_b32_e32 v21, v9, v21
	s_cbranch_scc1 .LBB4_383
	s_branch .LBB4_386
.LBB4_384:                              ;   in Loop: Header=BB4_357 Depth=1
                                        ; implicit-def: $vgpr20_vgpr21
                                        ; implicit-def: $sgpr17
	s_branch .LBB4_387
.LBB4_385:                              ;   in Loop: Header=BB4_357 Depth=1
	v_pk_mov_b32 v[20:21], 0, 0
.LBB4_386:                              ;   in Loop: Header=BB4_357 Depth=1
	s_mov_b32 s17, 0
	s_cbranch_execnz .LBB4_388
.LBB4_387:                              ;   in Loop: Header=BB4_357 Depth=1
	global_load_dwordx2 v[20:21], v33, s[0:1]
	s_add_i32 s17, s16, -8
	s_add_u32 s0, s0, 8
	s_addc_u32 s1, s1, 0
.LBB4_388:                              ;   in Loop: Header=BB4_357 Depth=1
	s_cmp_gt_u32 s17, 7
	s_cbranch_scc1 .LBB4_392
; %bb.389:                              ;   in Loop: Header=BB4_357 Depth=1
	s_cmp_eq_u32 s17, 0
	s_cbranch_scc1 .LBB4_393
; %bb.390:                              ;   in Loop: Header=BB4_357 Depth=1
	s_mov_b64 s[12:13], 0
	v_pk_mov_b32 v[22:23], 0, 0
	s_mov_b64 s[14:15], 0
.LBB4_391:                              ;   Parent Loop BB4_357 Depth=1
                                        ; =>  This Inner Loop Header: Depth=2
	s_add_u32 s18, s0, s14
	s_addc_u32 s19, s1, s15
	global_load_ubyte v1, v33, s[18:19]
	s_add_u32 s14, s14, 1
	s_addc_u32 s15, s15, 0
	s_waitcnt vmcnt(0)
	v_and_b32_e32 v32, 0xffff, v1
	v_lshlrev_b64 v[8:9], s12, v[32:33]
	s_add_u32 s12, s12, 8
	s_addc_u32 s13, s13, 0
	v_or_b32_e32 v22, v8, v22
	s_cmp_lg_u32 s17, s14
	v_or_b32_e32 v23, v9, v23
	s_cbranch_scc1 .LBB4_391
	s_branch .LBB4_394
.LBB4_392:                              ;   in Loop: Header=BB4_357 Depth=1
                                        ; implicit-def: $sgpr16
	s_branch .LBB4_395
.LBB4_393:                              ;   in Loop: Header=BB4_357 Depth=1
	v_pk_mov_b32 v[22:23], 0, 0
.LBB4_394:                              ;   in Loop: Header=BB4_357 Depth=1
	s_mov_b32 s16, 0
	s_cbranch_execnz .LBB4_396
.LBB4_395:                              ;   in Loop: Header=BB4_357 Depth=1
	global_load_dwordx2 v[22:23], v33, s[0:1]
	s_add_i32 s16, s17, -8
	s_add_u32 s0, s0, 8
	s_addc_u32 s1, s1, 0
.LBB4_396:                              ;   in Loop: Header=BB4_357 Depth=1
	s_cmp_gt_u32 s16, 7
	s_cbranch_scc1 .LBB4_400
; %bb.397:                              ;   in Loop: Header=BB4_357 Depth=1
	s_cmp_eq_u32 s16, 0
	s_cbranch_scc1 .LBB4_401
; %bb.398:                              ;   in Loop: Header=BB4_357 Depth=1
	s_mov_b64 s[12:13], 0
	v_pk_mov_b32 v[24:25], 0, 0
	s_mov_b64 s[14:15], 0
.LBB4_399:                              ;   Parent Loop BB4_357 Depth=1
                                        ; =>  This Inner Loop Header: Depth=2
	s_add_u32 s18, s0, s14
	s_addc_u32 s19, s1, s15
	global_load_ubyte v1, v33, s[18:19]
	s_add_u32 s14, s14, 1
	s_addc_u32 s15, s15, 0
	s_waitcnt vmcnt(0)
	v_and_b32_e32 v32, 0xffff, v1
	v_lshlrev_b64 v[8:9], s12, v[32:33]
	s_add_u32 s12, s12, 8
	s_addc_u32 s13, s13, 0
	v_or_b32_e32 v24, v8, v24
	s_cmp_lg_u32 s16, s14
	v_or_b32_e32 v25, v9, v25
	s_cbranch_scc1 .LBB4_399
	s_branch .LBB4_402
.LBB4_400:                              ;   in Loop: Header=BB4_357 Depth=1
                                        ; implicit-def: $vgpr24_vgpr25
                                        ; implicit-def: $sgpr17
	s_branch .LBB4_403
.LBB4_401:                              ;   in Loop: Header=BB4_357 Depth=1
	v_pk_mov_b32 v[24:25], 0, 0
.LBB4_402:                              ;   in Loop: Header=BB4_357 Depth=1
	s_mov_b32 s17, 0
	s_cbranch_execnz .LBB4_404
.LBB4_403:                              ;   in Loop: Header=BB4_357 Depth=1
	global_load_dwordx2 v[24:25], v33, s[0:1]
	s_add_i32 s17, s16, -8
	s_add_u32 s0, s0, 8
	s_addc_u32 s1, s1, 0
.LBB4_404:                              ;   in Loop: Header=BB4_357 Depth=1
	s_cmp_gt_u32 s17, 7
	s_cbranch_scc1 .LBB4_408
; %bb.405:                              ;   in Loop: Header=BB4_357 Depth=1
	s_cmp_eq_u32 s17, 0
	s_cbranch_scc1 .LBB4_409
; %bb.406:                              ;   in Loop: Header=BB4_357 Depth=1
	s_mov_b64 s[12:13], 0
	v_pk_mov_b32 v[26:27], 0, 0
	s_mov_b64 s[14:15], s[0:1]
.LBB4_407:                              ;   Parent Loop BB4_357 Depth=1
                                        ; =>  This Inner Loop Header: Depth=2
	global_load_ubyte v1, v33, s[14:15]
	s_add_i32 s17, s17, -1
	s_waitcnt vmcnt(0)
	v_and_b32_e32 v32, 0xffff, v1
	v_lshlrev_b64 v[8:9], s12, v[32:33]
	s_add_u32 s12, s12, 8
	s_addc_u32 s13, s13, 0
	s_add_u32 s14, s14, 1
	s_addc_u32 s15, s15, 0
	v_or_b32_e32 v26, v8, v26
	s_cmp_lg_u32 s17, 0
	v_or_b32_e32 v27, v9, v27
	s_cbranch_scc1 .LBB4_407
	s_branch .LBB4_410
.LBB4_408:                              ;   in Loop: Header=BB4_357 Depth=1
	s_branch .LBB4_411
.LBB4_409:                              ;   in Loop: Header=BB4_357 Depth=1
	v_pk_mov_b32 v[26:27], 0, 0
.LBB4_410:                              ;   in Loop: Header=BB4_357 Depth=1
	s_cbranch_execnz .LBB4_412
.LBB4_411:                              ;   in Loop: Header=BB4_357 Depth=1
	global_load_dwordx2 v[26:27], v33, s[0:1]
.LBB4_412:                              ;   in Loop: Header=BB4_357 Depth=1
	v_readfirstlane_b32 s0, v3
	v_cmp_eq_u32_e64 s[0:1], s0, v3
	s_waitcnt vmcnt(0)
	v_pk_mov_b32 v[8:9], 0, 0
	s_and_saveexec_b64 s[12:13], s[0:1]
	s_cbranch_execz .LBB4_418
; %bb.413:                              ;   in Loop: Header=BB4_357 Depth=1
	global_load_dwordx2 v[30:31], v33, s[2:3] offset:24 glc
	s_waitcnt vmcnt(0)
	buffer_invl2
	buffer_wbinvl1_vol
	global_load_dwordx2 v[8:9], v33, s[2:3] offset:40
	global_load_dwordx2 v[12:13], v33, s[2:3]
	s_waitcnt vmcnt(1)
	v_and_b32_e32 v1, v8, v30
	v_and_b32_e32 v8, v9, v31
	v_mul_lo_u32 v8, v8, 24
	v_mul_hi_u32 v9, v1, 24
	v_mul_lo_u32 v1, v1, 24
	v_add_u32_e32 v9, v9, v8
	s_waitcnt vmcnt(0)
	v_add_co_u32_e32 v8, vcc, v12, v1
	v_addc_co_u32_e32 v9, vcc, v13, v9, vcc
	global_load_dwordx2 v[28:29], v[8:9], off glc
	s_waitcnt vmcnt(0)
	global_atomic_cmpswap_x2 v[8:9], v33, v[28:31], s[2:3] offset:24 glc
	s_waitcnt vmcnt(0)
	buffer_invl2
	buffer_wbinvl1_vol
	v_cmp_ne_u64_e32 vcc, v[8:9], v[30:31]
	s_and_saveexec_b64 s[14:15], vcc
	s_cbranch_execz .LBB4_417
; %bb.414:                              ;   in Loop: Header=BB4_357 Depth=1
	s_mov_b64 s[16:17], 0
.LBB4_415:                              ;   Parent Loop BB4_357 Depth=1
                                        ; =>  This Inner Loop Header: Depth=2
	s_sleep 1
	global_load_dwordx2 v[12:13], v33, s[2:3] offset:40
	global_load_dwordx2 v[28:29], v33, s[2:3]
	v_pk_mov_b32 v[30:31], v[8:9], v[8:9] op_sel:[0,1]
	s_waitcnt vmcnt(1)
	v_and_b32_e32 v8, v12, v30
	s_waitcnt vmcnt(0)
	v_mad_u64_u32 v[8:9], s[18:19], v8, 24, v[28:29]
	v_and_b32_e32 v1, v13, v31
	v_mov_b32_e32 v12, v9
	v_mad_u64_u32 v[12:13], s[18:19], v1, 24, v[12:13]
	v_mov_b32_e32 v9, v12
	global_load_dwordx2 v[28:29], v[8:9], off glc
	s_waitcnt vmcnt(0)
	global_atomic_cmpswap_x2 v[8:9], v33, v[28:31], s[2:3] offset:24 glc
	s_waitcnt vmcnt(0)
	buffer_invl2
	buffer_wbinvl1_vol
	v_cmp_eq_u64_e32 vcc, v[8:9], v[30:31]
	s_or_b64 s[16:17], vcc, s[16:17]
	s_andn2_b64 exec, exec, s[16:17]
	s_cbranch_execnz .LBB4_415
; %bb.416:                              ;   in Loop: Header=BB4_357 Depth=1
	s_or_b64 exec, exec, s[16:17]
.LBB4_417:                              ;   in Loop: Header=BB4_357 Depth=1
	s_or_b64 exec, exec, s[14:15]
.LBB4_418:                              ;   in Loop: Header=BB4_357 Depth=1
	s_or_b64 exec, exec, s[12:13]
	global_load_dwordx2 v[12:13], v33, s[2:3] offset:40
	global_load_dwordx4 v[28:31], v33, s[2:3]
	v_readfirstlane_b32 s12, v8
	v_readfirstlane_b32 s13, v9
	s_mov_b64 s[14:15], exec
	s_waitcnt vmcnt(1)
	v_readfirstlane_b32 s16, v12
	v_readfirstlane_b32 s17, v13
	s_and_b64 s[16:17], s[12:13], s[16:17]
	s_mul_i32 s18, s17, 24
	s_mul_hi_u32 s19, s16, 24
	s_mul_i32 s20, s16, 24
	s_add_i32 s18, s19, s18
	v_mov_b32_e32 v1, s18
	s_waitcnt vmcnt(0)
	v_add_co_u32_e32 v34, vcc, s20, v28
	v_addc_co_u32_e32 v35, vcc, v29, v1, vcc
	s_and_saveexec_b64 s[18:19], s[0:1]
	s_cbranch_execz .LBB4_420
; %bb.419:                              ;   in Loop: Header=BB4_357 Depth=1
	v_pk_mov_b32 v[8:9], s[14:15], s[14:15] op_sel:[0,1]
	global_store_dwordx4 v[34:35], v[8:11], off offset:8
.LBB4_420:                              ;   in Loop: Header=BB4_357 Depth=1
	s_or_b64 exec, exec, s[18:19]
	s_lshl_b64 s[14:15], s[16:17], 12
	v_mov_b32_e32 v1, s15
	v_add_co_u32_e32 v30, vcc, s14, v30
	v_addc_co_u32_e32 v1, vcc, v31, v1, vcc
	v_or_b32_e32 v9, v6, v0
	v_cmp_gt_u64_e64 vcc, s[8:9], 56
	s_lshl_b32 s14, s10, 2
	v_cndmask_b32_e32 v6, v9, v6, vcc
	s_add_i32 s14, s14, 28
	v_or_b32_e32 v8, 0, v7
	s_and_b32 s14, s14, 0x1e0
	v_and_b32_e32 v6, 0xffffff1f, v6
	v_cndmask_b32_e32 v13, v8, v7, vcc
	v_or_b32_e32 v12, s14, v6
	v_readfirstlane_b32 s14, v30
	v_readfirstlane_b32 s15, v1
	s_nop 4
	global_store_dwordx4 v36, v[12:15], s[14:15]
	global_store_dwordx4 v36, v[16:19], s[14:15] offset:16
	global_store_dwordx4 v36, v[20:23], s[14:15] offset:32
	;; [unrolled: 1-line block ×3, first 2 shown]
	s_and_saveexec_b64 s[14:15], s[0:1]
	s_cbranch_execz .LBB4_428
; %bb.421:                              ;   in Loop: Header=BB4_357 Depth=1
	global_load_dwordx2 v[16:17], v33, s[2:3] offset:32 glc
	global_load_dwordx2 v[6:7], v33, s[2:3] offset:40
	v_mov_b32_e32 v14, s12
	v_mov_b32_e32 v15, s13
	s_waitcnt vmcnt(0)
	v_readfirstlane_b32 s16, v6
	v_readfirstlane_b32 s17, v7
	s_and_b64 s[16:17], s[16:17], s[12:13]
	s_mul_i32 s17, s17, 24
	s_mul_hi_u32 s18, s16, 24
	s_mul_i32 s16, s16, 24
	s_add_i32 s17, s18, s17
	v_mov_b32_e32 v6, s17
	v_add_co_u32_e32 v12, vcc, s16, v28
	v_addc_co_u32_e32 v13, vcc, v29, v6, vcc
	global_store_dwordx2 v[12:13], v[16:17], off
	buffer_wbl2
	s_waitcnt vmcnt(0)
	global_atomic_cmpswap_x2 v[8:9], v33, v[14:17], s[2:3] offset:32 glc
	s_waitcnt vmcnt(0)
	v_cmp_ne_u64_e32 vcc, v[8:9], v[16:17]
	s_and_saveexec_b64 s[16:17], vcc
	s_cbranch_execz .LBB4_424
; %bb.422:                              ;   in Loop: Header=BB4_357 Depth=1
	s_mov_b64 s[18:19], 0
.LBB4_423:                              ;   Parent Loop BB4_357 Depth=1
                                        ; =>  This Inner Loop Header: Depth=2
	s_sleep 1
	global_store_dwordx2 v[12:13], v[8:9], off
	v_mov_b32_e32 v6, s12
	v_mov_b32_e32 v7, s13
	buffer_wbl2
	s_waitcnt vmcnt(0)
	global_atomic_cmpswap_x2 v[6:7], v33, v[6:9], s[2:3] offset:32 glc
	s_waitcnt vmcnt(0)
	v_cmp_eq_u64_e32 vcc, v[6:7], v[8:9]
	s_or_b64 s[18:19], vcc, s[18:19]
	v_pk_mov_b32 v[8:9], v[6:7], v[6:7] op_sel:[0,1]
	s_andn2_b64 exec, exec, s[18:19]
	s_cbranch_execnz .LBB4_423
.LBB4_424:                              ;   in Loop: Header=BB4_357 Depth=1
	s_or_b64 exec, exec, s[16:17]
	global_load_dwordx2 v[6:7], v33, s[2:3] offset:16
	s_mov_b64 s[18:19], exec
	v_mbcnt_lo_u32_b32 v8, s18, 0
	v_mbcnt_hi_u32_b32 v8, s19, v8
	v_cmp_eq_u32_e32 vcc, 0, v8
	s_and_saveexec_b64 s[16:17], vcc
	s_cbranch_execz .LBB4_426
; %bb.425:                              ;   in Loop: Header=BB4_357 Depth=1
	s_bcnt1_i32_b64 s18, s[18:19]
	v_mov_b32_e32 v32, s18
	buffer_wbl2
	s_waitcnt vmcnt(0)
	global_atomic_add_x2 v[6:7], v[32:33], off offset:8
.LBB4_426:                              ;   in Loop: Header=BB4_357 Depth=1
	s_or_b64 exec, exec, s[16:17]
	s_waitcnt vmcnt(0)
	global_load_dwordx2 v[8:9], v[6:7], off offset:16
	s_waitcnt vmcnt(0)
	v_cmp_eq_u64_e32 vcc, 0, v[8:9]
	s_cbranch_vccnz .LBB4_428
; %bb.427:                              ;   in Loop: Header=BB4_357 Depth=1
	global_load_dword v32, v[6:7], off offset:24
	s_waitcnt vmcnt(0)
	v_and_b32_e32 v6, 0xffffff, v32
	v_readfirstlane_b32 m0, v6
	buffer_wbl2
	global_store_dwordx2 v[8:9], v[32:33], off
	s_sendmsg sendmsg(MSG_INTERRUPT)
.LBB4_428:                              ;   in Loop: Header=BB4_357 Depth=1
	s_or_b64 exec, exec, s[14:15]
	v_add_co_u32_e32 v6, vcc, v30, v36
	v_addc_co_u32_e32 v7, vcc, 0, v1, vcc
	s_branch .LBB4_432
.LBB4_429:                              ;   in Loop: Header=BB4_432 Depth=2
	s_or_b64 exec, exec, s[14:15]
	v_readfirstlane_b32 s14, v1
	s_cmp_eq_u32 s14, 0
	s_cbranch_scc1 .LBB4_431
; %bb.430:                              ;   in Loop: Header=BB4_432 Depth=2
	s_sleep 1
	s_cbranch_execnz .LBB4_432
	s_branch .LBB4_434
.LBB4_431:                              ;   in Loop: Header=BB4_357 Depth=1
	s_branch .LBB4_434
.LBB4_432:                              ;   Parent Loop BB4_357 Depth=1
                                        ; =>  This Inner Loop Header: Depth=2
	v_mov_b32_e32 v1, 1
	s_and_saveexec_b64 s[14:15], s[0:1]
	s_cbranch_execz .LBB4_429
; %bb.433:                              ;   in Loop: Header=BB4_432 Depth=2
	global_load_dword v1, v[34:35], off offset:20 glc
	s_waitcnt vmcnt(0)
	buffer_invl2
	buffer_wbinvl1_vol
	v_and_b32_e32 v1, 1, v1
	s_branch .LBB4_429
.LBB4_434:                              ;   in Loop: Header=BB4_357 Depth=1
	global_load_dwordx4 v[6:9], v[6:7], off
	s_and_saveexec_b64 s[14:15], s[0:1]
	s_cbranch_execz .LBB4_356
; %bb.435:                              ;   in Loop: Header=BB4_357 Depth=1
	global_load_dwordx2 v[8:9], v33, s[2:3] offset:40
	global_load_dwordx2 v[16:17], v33, s[2:3] offset:24 glc
	global_load_dwordx2 v[18:19], v33, s[2:3]
	v_mov_b32_e32 v1, s13
	s_waitcnt vmcnt(2)
	v_add_co_u32_e32 v15, vcc, 1, v8
	v_addc_co_u32_e32 v20, vcc, 0, v9, vcc
	v_add_co_u32_e32 v12, vcc, s12, v15
	v_addc_co_u32_e32 v13, vcc, v20, v1, vcc
	v_cmp_eq_u64_e32 vcc, 0, v[12:13]
	v_cndmask_b32_e32 v13, v13, v20, vcc
	v_cndmask_b32_e32 v12, v12, v15, vcc
	v_and_b32_e32 v1, v13, v9
	v_and_b32_e32 v8, v12, v8
	v_mul_lo_u32 v1, v1, 24
	v_mul_hi_u32 v9, v8, 24
	v_mul_lo_u32 v8, v8, 24
	v_add_u32_e32 v1, v9, v1
	s_waitcnt vmcnt(0)
	v_add_co_u32_e32 v8, vcc, v18, v8
	v_addc_co_u32_e32 v9, vcc, v19, v1, vcc
	v_mov_b32_e32 v14, v16
	global_store_dwordx2 v[8:9], v[16:17], off
	v_mov_b32_e32 v15, v17
	buffer_wbl2
	s_waitcnt vmcnt(0)
	global_atomic_cmpswap_x2 v[14:15], v33, v[12:15], s[2:3] offset:24 glc
	s_waitcnt vmcnt(0)
	v_cmp_ne_u64_e32 vcc, v[14:15], v[16:17]
	s_and_b64 exec, exec, vcc
	s_cbranch_execz .LBB4_356
; %bb.436:                              ;   in Loop: Header=BB4_357 Depth=1
	s_mov_b64 s[0:1], 0
.LBB4_437:                              ;   Parent Loop BB4_357 Depth=1
                                        ; =>  This Inner Loop Header: Depth=2
	s_sleep 1
	global_store_dwordx2 v[8:9], v[14:15], off
	buffer_wbl2
	s_waitcnt vmcnt(0)
	global_atomic_cmpswap_x2 v[16:17], v33, v[12:15], s[2:3] offset:24 glc
	s_waitcnt vmcnt(0)
	v_cmp_eq_u64_e32 vcc, v[16:17], v[14:15]
	s_or_b64 s[0:1], vcc, s[0:1]
	v_pk_mov_b32 v[14:15], v[16:17], v[16:17] op_sel:[0,1]
	s_andn2_b64 exec, exec, s[0:1]
	s_cbranch_execnz .LBB4_437
	s_branch .LBB4_356
.LBB4_438:
	s_branch .LBB4_466
.LBB4_439:
                                        ; implicit-def: $vgpr6_vgpr7
	s_cbranch_execz .LBB4_466
; %bb.440:
	v_readfirstlane_b32 s0, v3
	v_cmp_eq_u32_e64 s[0:1], s0, v3
	v_pk_mov_b32 v[0:1], 0, 0
	s_and_saveexec_b64 s[4:5], s[0:1]
	s_cbranch_execz .LBB4_446
; %bb.441:
	s_waitcnt vmcnt(0)
	v_mov_b32_e32 v6, 0
	global_load_dwordx2 v[10:11], v6, s[2:3] offset:24 glc
	s_waitcnt vmcnt(0)
	buffer_invl2
	buffer_wbinvl1_vol
	global_load_dwordx2 v[0:1], v6, s[2:3] offset:40
	global_load_dwordx2 v[8:9], v6, s[2:3]
	s_waitcnt vmcnt(1)
	v_and_b32_e32 v0, v0, v10
	v_and_b32_e32 v1, v1, v11
	v_mul_lo_u32 v1, v1, 24
	v_mul_hi_u32 v7, v0, 24
	v_mul_lo_u32 v0, v0, 24
	v_add_u32_e32 v1, v7, v1
	s_waitcnt vmcnt(0)
	v_add_co_u32_e32 v0, vcc, v8, v0
	v_addc_co_u32_e32 v1, vcc, v9, v1, vcc
	global_load_dwordx2 v[8:9], v[0:1], off glc
	s_waitcnt vmcnt(0)
	global_atomic_cmpswap_x2 v[0:1], v6, v[8:11], s[2:3] offset:24 glc
	s_waitcnt vmcnt(0)
	buffer_invl2
	buffer_wbinvl1_vol
	v_cmp_ne_u64_e32 vcc, v[0:1], v[10:11]
	s_and_saveexec_b64 s[8:9], vcc
	s_cbranch_execz .LBB4_445
; %bb.442:
	s_mov_b64 s[10:11], 0
.LBB4_443:                              ; =>This Inner Loop Header: Depth=1
	s_sleep 1
	global_load_dwordx2 v[8:9], v6, s[2:3] offset:40
	global_load_dwordx2 v[12:13], v6, s[2:3]
	v_pk_mov_b32 v[10:11], v[0:1], v[0:1] op_sel:[0,1]
	s_waitcnt vmcnt(1)
	v_and_b32_e32 v0, v8, v10
	s_waitcnt vmcnt(0)
	v_mad_u64_u32 v[0:1], s[12:13], v0, 24, v[12:13]
	v_and_b32_e32 v7, v9, v11
	v_mov_b32_e32 v8, v1
	v_mad_u64_u32 v[8:9], s[12:13], v7, 24, v[8:9]
	v_mov_b32_e32 v1, v8
	global_load_dwordx2 v[8:9], v[0:1], off glc
	s_waitcnt vmcnt(0)
	global_atomic_cmpswap_x2 v[0:1], v6, v[8:11], s[2:3] offset:24 glc
	s_waitcnt vmcnt(0)
	buffer_invl2
	buffer_wbinvl1_vol
	v_cmp_eq_u64_e32 vcc, v[0:1], v[10:11]
	s_or_b64 s[10:11], vcc, s[10:11]
	s_andn2_b64 exec, exec, s[10:11]
	s_cbranch_execnz .LBB4_443
; %bb.444:
	s_or_b64 exec, exec, s[10:11]
.LBB4_445:
	s_or_b64 exec, exec, s[8:9]
.LBB4_446:
	s_or_b64 exec, exec, s[4:5]
	s_waitcnt vmcnt(0)
	v_mov_b32_e32 v6, 0
	global_load_dwordx2 v[12:13], v6, s[2:3] offset:40
	global_load_dwordx4 v[8:11], v6, s[2:3]
	v_readfirstlane_b32 s4, v0
	v_readfirstlane_b32 s5, v1
	s_mov_b64 s[8:9], exec
	s_waitcnt vmcnt(1)
	v_readfirstlane_b32 s10, v12
	v_readfirstlane_b32 s11, v13
	s_and_b64 s[10:11], s[4:5], s[10:11]
	s_mul_i32 s12, s11, 24
	s_mul_hi_u32 s13, s10, 24
	s_mul_i32 s14, s10, 24
	s_add_i32 s12, s13, s12
	v_mov_b32_e32 v1, s12
	s_waitcnt vmcnt(0)
	v_add_co_u32_e32 v0, vcc, s14, v8
	v_addc_co_u32_e32 v1, vcc, v9, v1, vcc
	s_and_saveexec_b64 s[12:13], s[0:1]
	s_cbranch_execz .LBB4_448
; %bb.447:
	v_pk_mov_b32 v[12:13], s[8:9], s[8:9] op_sel:[0,1]
	v_mov_b32_e32 v14, 2
	v_mov_b32_e32 v15, 1
	global_store_dwordx4 v[0:1], v[12:15], off offset:8
.LBB4_448:
	s_or_b64 exec, exec, s[12:13]
	s_lshl_b64 s[8:9], s[10:11], 12
	v_mov_b32_e32 v7, s9
	v_add_co_u32_e32 v12, vcc, s8, v10
	s_movk_i32 s8, 0xff1f
	v_addc_co_u32_e32 v13, vcc, v11, v7, vcc
	v_and_or_b32 v4, v4, s8, 32
	s_mov_b32 s8, 0
	v_mov_b32_e32 v7, v6
	v_readfirstlane_b32 s12, v12
	v_readfirstlane_b32 s13, v13
	s_mov_b32 s9, s8
	v_add_co_u32_e32 v10, vcc, v12, v36
	s_mov_b32 s10, s8
	s_mov_b32 s11, s8
	s_nop 0
	global_store_dwordx4 v36, v[4:7], s[12:13]
	v_addc_co_u32_e32 v11, vcc, 0, v13, vcc
	v_pk_mov_b32 v[4:5], s[8:9], s[8:9] op_sel:[0,1]
	v_pk_mov_b32 v[6:7], s[10:11], s[10:11] op_sel:[0,1]
	global_store_dwordx4 v36, v[4:7], s[12:13] offset:16
	global_store_dwordx4 v36, v[4:7], s[12:13] offset:32
	;; [unrolled: 1-line block ×3, first 2 shown]
	s_and_saveexec_b64 s[8:9], s[0:1]
	s_cbranch_execz .LBB4_456
; %bb.449:
	v_mov_b32_e32 v12, 0
	global_load_dwordx2 v[16:17], v12, s[2:3] offset:32 glc
	global_load_dwordx2 v[4:5], v12, s[2:3] offset:40
	v_mov_b32_e32 v14, s4
	v_mov_b32_e32 v15, s5
	s_waitcnt vmcnt(0)
	v_readfirstlane_b32 s10, v4
	v_readfirstlane_b32 s11, v5
	s_and_b64 s[10:11], s[10:11], s[4:5]
	s_mul_i32 s11, s11, 24
	s_mul_hi_u32 s12, s10, 24
	s_mul_i32 s10, s10, 24
	s_add_i32 s11, s12, s11
	v_mov_b32_e32 v4, s11
	v_add_co_u32_e32 v8, vcc, s10, v8
	v_addc_co_u32_e32 v9, vcc, v9, v4, vcc
	global_store_dwordx2 v[8:9], v[16:17], off
	buffer_wbl2
	s_waitcnt vmcnt(0)
	global_atomic_cmpswap_x2 v[6:7], v12, v[14:17], s[2:3] offset:32 glc
	s_waitcnt vmcnt(0)
	v_cmp_ne_u64_e32 vcc, v[6:7], v[16:17]
	s_and_saveexec_b64 s[10:11], vcc
	s_cbranch_execz .LBB4_452
; %bb.450:
	s_mov_b64 s[12:13], 0
.LBB4_451:                              ; =>This Inner Loop Header: Depth=1
	s_sleep 1
	global_store_dwordx2 v[8:9], v[6:7], off
	v_mov_b32_e32 v4, s4
	v_mov_b32_e32 v5, s5
	buffer_wbl2
	s_waitcnt vmcnt(0)
	global_atomic_cmpswap_x2 v[4:5], v12, v[4:7], s[2:3] offset:32 glc
	s_waitcnt vmcnt(0)
	v_cmp_eq_u64_e32 vcc, v[4:5], v[6:7]
	s_or_b64 s[12:13], vcc, s[12:13]
	v_pk_mov_b32 v[6:7], v[4:5], v[4:5] op_sel:[0,1]
	s_andn2_b64 exec, exec, s[12:13]
	s_cbranch_execnz .LBB4_451
.LBB4_452:
	s_or_b64 exec, exec, s[10:11]
	v_mov_b32_e32 v7, 0
	global_load_dwordx2 v[4:5], v7, s[2:3] offset:16
	s_mov_b64 s[10:11], exec
	v_mbcnt_lo_u32_b32 v6, s10, 0
	v_mbcnt_hi_u32_b32 v6, s11, v6
	v_cmp_eq_u32_e32 vcc, 0, v6
	s_and_saveexec_b64 s[12:13], vcc
	s_cbranch_execz .LBB4_454
; %bb.453:
	s_bcnt1_i32_b64 s10, s[10:11]
	v_mov_b32_e32 v6, s10
	buffer_wbl2
	s_waitcnt vmcnt(0)
	global_atomic_add_x2 v[4:5], v[6:7], off offset:8
.LBB4_454:
	s_or_b64 exec, exec, s[12:13]
	s_waitcnt vmcnt(0)
	global_load_dwordx2 v[6:7], v[4:5], off offset:16
	s_waitcnt vmcnt(0)
	v_cmp_eq_u64_e32 vcc, 0, v[6:7]
	s_cbranch_vccnz .LBB4_456
; %bb.455:
	global_load_dword v4, v[4:5], off offset:24
	v_mov_b32_e32 v5, 0
	buffer_wbl2
	s_waitcnt vmcnt(0)
	global_store_dwordx2 v[6:7], v[4:5], off
	v_and_b32_e32 v4, 0xffffff, v4
	v_readfirstlane_b32 m0, v4
	s_sendmsg sendmsg(MSG_INTERRUPT)
.LBB4_456:
	s_or_b64 exec, exec, s[8:9]
	s_branch .LBB4_460
.LBB4_457:                              ;   in Loop: Header=BB4_460 Depth=1
	s_or_b64 exec, exec, s[8:9]
	v_readfirstlane_b32 s8, v4
	s_cmp_eq_u32 s8, 0
	s_cbranch_scc1 .LBB4_459
; %bb.458:                              ;   in Loop: Header=BB4_460 Depth=1
	s_sleep 1
	s_cbranch_execnz .LBB4_460
	s_branch .LBB4_462
.LBB4_459:
	s_branch .LBB4_462
.LBB4_460:                              ; =>This Inner Loop Header: Depth=1
	v_mov_b32_e32 v4, 1
	s_and_saveexec_b64 s[8:9], s[0:1]
	s_cbranch_execz .LBB4_457
; %bb.461:                              ;   in Loop: Header=BB4_460 Depth=1
	global_load_dword v4, v[0:1], off offset:20 glc
	s_waitcnt vmcnt(0)
	buffer_invl2
	buffer_wbinvl1_vol
	v_and_b32_e32 v4, 1, v4
	s_branch .LBB4_457
.LBB4_462:
	global_load_dwordx2 v[6:7], v[10:11], off
	s_and_saveexec_b64 s[8:9], s[0:1]
	s_cbranch_execz .LBB4_465
; %bb.463:
	v_mov_b32_e32 v4, 0
	global_load_dwordx2 v[0:1], v4, s[2:3] offset:40
	global_load_dwordx2 v[12:13], v4, s[2:3] offset:24 glc
	global_load_dwordx2 v[14:15], v4, s[2:3]
	v_mov_b32_e32 v5, s5
	s_mov_b64 s[0:1], 0
	s_waitcnt vmcnt(2)
	v_add_co_u32_e32 v11, vcc, 1, v0
	v_addc_co_u32_e32 v16, vcc, 0, v1, vcc
	v_add_co_u32_e32 v8, vcc, s4, v11
	v_addc_co_u32_e32 v9, vcc, v16, v5, vcc
	v_cmp_eq_u64_e32 vcc, 0, v[8:9]
	v_cndmask_b32_e32 v9, v9, v16, vcc
	v_cndmask_b32_e32 v8, v8, v11, vcc
	v_and_b32_e32 v1, v9, v1
	v_and_b32_e32 v0, v8, v0
	v_mul_lo_u32 v1, v1, 24
	v_mul_hi_u32 v5, v0, 24
	v_mul_lo_u32 v0, v0, 24
	v_add_u32_e32 v1, v5, v1
	s_waitcnt vmcnt(0)
	v_add_co_u32_e32 v0, vcc, v14, v0
	v_addc_co_u32_e32 v1, vcc, v15, v1, vcc
	v_mov_b32_e32 v10, v12
	global_store_dwordx2 v[0:1], v[12:13], off
	v_mov_b32_e32 v11, v13
	buffer_wbl2
	s_waitcnt vmcnt(0)
	global_atomic_cmpswap_x2 v[10:11], v4, v[8:11], s[2:3] offset:24 glc
	s_waitcnt vmcnt(0)
	v_cmp_ne_u64_e32 vcc, v[10:11], v[12:13]
	s_and_b64 exec, exec, vcc
	s_cbranch_execz .LBB4_465
.LBB4_464:                              ; =>This Inner Loop Header: Depth=1
	s_sleep 1
	global_store_dwordx2 v[0:1], v[10:11], off
	buffer_wbl2
	s_waitcnt vmcnt(0)
	global_atomic_cmpswap_x2 v[12:13], v4, v[8:11], s[2:3] offset:24 glc
	s_waitcnt vmcnt(0)
	v_cmp_eq_u64_e32 vcc, v[12:13], v[10:11]
	s_or_b64 s[0:1], vcc, s[0:1]
	v_pk_mov_b32 v[10:11], v[12:13], v[12:13] op_sel:[0,1]
	s_andn2_b64 exec, exec, s[0:1]
	s_cbranch_execnz .LBB4_464
.LBB4_465:
	s_or_b64 exec, exec, s[8:9]
.LBB4_466:
	v_readfirstlane_b32 s0, v3
	v_cmp_eq_u32_e64 s[0:1], s0, v3
	v_pk_mov_b32 v[0:1], 0, 0
	s_and_saveexec_b64 s[4:5], s[0:1]
	s_cbranch_execz .LBB4_472
; %bb.467:
	s_waitcnt vmcnt(0)
	v_mov_b32_e32 v4, 0
	global_load_dwordx2 v[10:11], v4, s[2:3] offset:24 glc
	s_waitcnt vmcnt(0)
	buffer_invl2
	buffer_wbinvl1_vol
	global_load_dwordx2 v[0:1], v4, s[2:3] offset:40
	global_load_dwordx2 v[8:9], v4, s[2:3]
	s_waitcnt vmcnt(1)
	v_and_b32_e32 v0, v0, v10
	v_and_b32_e32 v1, v1, v11
	v_mul_lo_u32 v1, v1, 24
	v_mul_hi_u32 v5, v0, 24
	v_mul_lo_u32 v0, v0, 24
	v_add_u32_e32 v1, v5, v1
	s_waitcnt vmcnt(0)
	v_add_co_u32_e32 v0, vcc, v8, v0
	v_addc_co_u32_e32 v1, vcc, v9, v1, vcc
	global_load_dwordx2 v[8:9], v[0:1], off glc
	s_waitcnt vmcnt(0)
	global_atomic_cmpswap_x2 v[0:1], v4, v[8:11], s[2:3] offset:24 glc
	s_waitcnt vmcnt(0)
	buffer_invl2
	buffer_wbinvl1_vol
	v_cmp_ne_u64_e32 vcc, v[0:1], v[10:11]
	s_and_saveexec_b64 s[8:9], vcc
	s_cbranch_execz .LBB4_471
; %bb.468:
	s_mov_b64 s[10:11], 0
.LBB4_469:                              ; =>This Inner Loop Header: Depth=1
	s_sleep 1
	global_load_dwordx2 v[8:9], v4, s[2:3] offset:40
	global_load_dwordx2 v[12:13], v4, s[2:3]
	v_pk_mov_b32 v[10:11], v[0:1], v[0:1] op_sel:[0,1]
	s_waitcnt vmcnt(1)
	v_and_b32_e32 v0, v8, v10
	s_waitcnt vmcnt(0)
	v_mad_u64_u32 v[0:1], s[12:13], v0, 24, v[12:13]
	v_and_b32_e32 v5, v9, v11
	v_mov_b32_e32 v8, v1
	v_mad_u64_u32 v[8:9], s[12:13], v5, 24, v[8:9]
	v_mov_b32_e32 v1, v8
	global_load_dwordx2 v[8:9], v[0:1], off glc
	s_waitcnt vmcnt(0)
	global_atomic_cmpswap_x2 v[0:1], v4, v[8:11], s[2:3] offset:24 glc
	s_waitcnt vmcnt(0)
	buffer_invl2
	buffer_wbinvl1_vol
	v_cmp_eq_u64_e32 vcc, v[0:1], v[10:11]
	s_or_b64 s[10:11], vcc, s[10:11]
	s_andn2_b64 exec, exec, s[10:11]
	s_cbranch_execnz .LBB4_469
; %bb.470:
	s_or_b64 exec, exec, s[10:11]
.LBB4_471:
	s_or_b64 exec, exec, s[8:9]
.LBB4_472:
	s_or_b64 exec, exec, s[4:5]
	s_waitcnt vmcnt(0)
	v_mov_b32_e32 v9, 0
	global_load_dwordx2 v[4:5], v9, s[2:3] offset:40
	global_load_dwordx4 v[10:13], v9, s[2:3]
	v_readfirstlane_b32 s4, v0
	v_readfirstlane_b32 s5, v1
	s_mov_b64 s[8:9], exec
	s_waitcnt vmcnt(1)
	v_readfirstlane_b32 s10, v4
	v_readfirstlane_b32 s11, v5
	s_and_b64 s[10:11], s[4:5], s[10:11]
	s_mul_i32 s12, s11, 24
	s_mul_hi_u32 s13, s10, 24
	s_mul_i32 s14, s10, 24
	s_add_i32 s12, s13, s12
	v_mov_b32_e32 v1, s12
	s_waitcnt vmcnt(0)
	v_add_co_u32_e32 v0, vcc, s14, v10
	v_addc_co_u32_e32 v1, vcc, v11, v1, vcc
	s_and_saveexec_b64 s[12:13], s[0:1]
	s_cbranch_execz .LBB4_474
; %bb.473:
	v_pk_mov_b32 v[14:15], s[8:9], s[8:9] op_sel:[0,1]
	v_mov_b32_e32 v16, 2
	v_mov_b32_e32 v17, 1
	global_store_dwordx4 v[0:1], v[14:17], off offset:8
.LBB4_474:
	s_or_b64 exec, exec, s[12:13]
	s_lshl_b64 s[8:9], s[10:11], 12
	v_mov_b32_e32 v5, s9
	v_add_co_u32_e32 v4, vcc, s8, v12
	s_movk_i32 s8, 0xff1f
	v_addc_co_u32_e32 v5, vcc, v13, v5, vcc
	v_and_or_b32 v6, v6, s8, 32
	s_bcnt1_i32_b64 s6, s[6:7]
	s_mov_b32 s8, 0
	v_add_co_u32_e32 v12, vcc, v4, v36
	v_mov_b32_e32 v8, s6
	v_readfirstlane_b32 s6, v4
	v_readfirstlane_b32 s7, v5
	s_mov_b32 s9, s8
	v_addc_co_u32_e32 v13, vcc, 0, v5, vcc
	s_mov_b32 s10, s8
	s_mov_b32 s11, s8
	s_nop 0
	global_store_dwordx4 v36, v[6:9], s[6:7]
	v_pk_mov_b32 v[4:5], s[8:9], s[8:9] op_sel:[0,1]
	v_pk_mov_b32 v[6:7], s[10:11], s[10:11] op_sel:[0,1]
	global_store_dwordx4 v36, v[4:7], s[6:7] offset:16
	global_store_dwordx4 v36, v[4:7], s[6:7] offset:32
	global_store_dwordx4 v36, v[4:7], s[6:7] offset:48
	s_and_saveexec_b64 s[6:7], s[0:1]
	s_cbranch_execz .LBB4_482
; %bb.475:
	v_mov_b32_e32 v14, 0
	global_load_dwordx2 v[18:19], v14, s[2:3] offset:32 glc
	global_load_dwordx2 v[4:5], v14, s[2:3] offset:40
	v_mov_b32_e32 v16, s4
	v_mov_b32_e32 v17, s5
	s_waitcnt vmcnt(0)
	v_readfirstlane_b32 s8, v4
	v_readfirstlane_b32 s9, v5
	s_and_b64 s[8:9], s[8:9], s[4:5]
	s_mul_i32 s9, s9, 24
	s_mul_hi_u32 s10, s8, 24
	s_mul_i32 s8, s8, 24
	s_add_i32 s9, s10, s9
	v_mov_b32_e32 v4, s9
	v_add_co_u32_e32 v8, vcc, s8, v10
	v_addc_co_u32_e32 v9, vcc, v11, v4, vcc
	global_store_dwordx2 v[8:9], v[18:19], off
	buffer_wbl2
	s_waitcnt vmcnt(0)
	global_atomic_cmpswap_x2 v[6:7], v14, v[16:19], s[2:3] offset:32 glc
	s_waitcnt vmcnt(0)
	v_cmp_ne_u64_e32 vcc, v[6:7], v[18:19]
	s_and_saveexec_b64 s[8:9], vcc
	s_cbranch_execz .LBB4_478
; %bb.476:
	s_mov_b64 s[10:11], 0
.LBB4_477:                              ; =>This Inner Loop Header: Depth=1
	s_sleep 1
	global_store_dwordx2 v[8:9], v[6:7], off
	v_mov_b32_e32 v4, s4
	v_mov_b32_e32 v5, s5
	buffer_wbl2
	s_waitcnt vmcnt(0)
	global_atomic_cmpswap_x2 v[4:5], v14, v[4:7], s[2:3] offset:32 glc
	s_waitcnt vmcnt(0)
	v_cmp_eq_u64_e32 vcc, v[4:5], v[6:7]
	s_or_b64 s[10:11], vcc, s[10:11]
	v_pk_mov_b32 v[6:7], v[4:5], v[4:5] op_sel:[0,1]
	s_andn2_b64 exec, exec, s[10:11]
	s_cbranch_execnz .LBB4_477
.LBB4_478:
	s_or_b64 exec, exec, s[8:9]
	v_mov_b32_e32 v7, 0
	global_load_dwordx2 v[4:5], v7, s[2:3] offset:16
	s_mov_b64 s[8:9], exec
	v_mbcnt_lo_u32_b32 v6, s8, 0
	v_mbcnt_hi_u32_b32 v6, s9, v6
	v_cmp_eq_u32_e32 vcc, 0, v6
	s_and_saveexec_b64 s[10:11], vcc
	s_cbranch_execz .LBB4_480
; %bb.479:
	s_bcnt1_i32_b64 s8, s[8:9]
	v_mov_b32_e32 v6, s8
	buffer_wbl2
	s_waitcnt vmcnt(0)
	global_atomic_add_x2 v[4:5], v[6:7], off offset:8
.LBB4_480:
	s_or_b64 exec, exec, s[10:11]
	s_waitcnt vmcnt(0)
	global_load_dwordx2 v[6:7], v[4:5], off offset:16
	s_waitcnt vmcnt(0)
	v_cmp_eq_u64_e32 vcc, 0, v[6:7]
	s_cbranch_vccnz .LBB4_482
; %bb.481:
	global_load_dword v4, v[4:5], off offset:24
	v_mov_b32_e32 v5, 0
	buffer_wbl2
	s_waitcnt vmcnt(0)
	global_store_dwordx2 v[6:7], v[4:5], off
	v_and_b32_e32 v4, 0xffffff, v4
	v_readfirstlane_b32 m0, v4
	s_sendmsg sendmsg(MSG_INTERRUPT)
.LBB4_482:
	s_or_b64 exec, exec, s[6:7]
	s_branch .LBB4_486
.LBB4_483:                              ;   in Loop: Header=BB4_486 Depth=1
	s_or_b64 exec, exec, s[6:7]
	v_readfirstlane_b32 s6, v4
	s_cmp_eq_u32 s6, 0
	s_cbranch_scc1 .LBB4_485
; %bb.484:                              ;   in Loop: Header=BB4_486 Depth=1
	s_sleep 1
	s_cbranch_execnz .LBB4_486
	s_branch .LBB4_488
.LBB4_485:
	s_branch .LBB4_488
.LBB4_486:                              ; =>This Inner Loop Header: Depth=1
	v_mov_b32_e32 v4, 1
	s_and_saveexec_b64 s[6:7], s[0:1]
	s_cbranch_execz .LBB4_483
; %bb.487:                              ;   in Loop: Header=BB4_486 Depth=1
	global_load_dword v4, v[0:1], off offset:20 glc
	s_waitcnt vmcnt(0)
	buffer_invl2
	buffer_wbinvl1_vol
	v_and_b32_e32 v4, 1, v4
	s_branch .LBB4_483
.LBB4_488:
	global_load_dwordx2 v[0:1], v[12:13], off
	s_and_saveexec_b64 s[6:7], s[0:1]
	s_cbranch_execz .LBB4_491
; %bb.489:
	v_mov_b32_e32 v10, 0
	global_load_dwordx2 v[8:9], v10, s[2:3] offset:40
	global_load_dwordx2 v[12:13], v10, s[2:3] offset:24 glc
	global_load_dwordx2 v[14:15], v10, s[2:3]
	v_mov_b32_e32 v5, s5
	s_mov_b64 s[0:1], 0
	s_waitcnt vmcnt(2)
	v_add_co_u32_e32 v7, vcc, 1, v8
	v_addc_co_u32_e32 v11, vcc, 0, v9, vcc
	v_add_co_u32_e32 v4, vcc, s4, v7
	v_addc_co_u32_e32 v5, vcc, v11, v5, vcc
	v_cmp_eq_u64_e32 vcc, 0, v[4:5]
	v_cndmask_b32_e32 v5, v5, v11, vcc
	v_cndmask_b32_e32 v4, v4, v7, vcc
	v_and_b32_e32 v7, v5, v9
	v_and_b32_e32 v8, v4, v8
	v_mul_lo_u32 v7, v7, 24
	v_mul_hi_u32 v9, v8, 24
	v_mul_lo_u32 v8, v8, 24
	v_add_u32_e32 v7, v9, v7
	s_waitcnt vmcnt(0)
	v_add_co_u32_e32 v8, vcc, v14, v8
	v_addc_co_u32_e32 v9, vcc, v15, v7, vcc
	v_mov_b32_e32 v6, v12
	global_store_dwordx2 v[8:9], v[12:13], off
	v_mov_b32_e32 v7, v13
	buffer_wbl2
	s_waitcnt vmcnt(0)
	global_atomic_cmpswap_x2 v[6:7], v10, v[4:7], s[2:3] offset:24 glc
	s_waitcnt vmcnt(0)
	v_cmp_ne_u64_e32 vcc, v[6:7], v[12:13]
	s_and_b64 exec, exec, vcc
	s_cbranch_execz .LBB4_491
.LBB4_490:                              ; =>This Inner Loop Header: Depth=1
	s_sleep 1
	global_store_dwordx2 v[8:9], v[6:7], off
	buffer_wbl2
	s_waitcnt vmcnt(0)
	global_atomic_cmpswap_x2 v[12:13], v10, v[4:7], s[2:3] offset:24 glc
	s_waitcnt vmcnt(0)
	v_cmp_eq_u64_e32 vcc, v[12:13], v[6:7]
	s_or_b64 s[0:1], vcc, s[0:1]
	v_pk_mov_b32 v[6:7], v[12:13], v[12:13] op_sel:[0,1]
	s_andn2_b64 exec, exec, s[0:1]
	s_cbranch_execnz .LBB4_490
.LBB4_491:
	s_or_b64 exec, exec, s[6:7]
	v_readfirstlane_b32 s0, v3
	v_cmp_eq_u32_e64 s[0:1], s0, v3
	v_pk_mov_b32 v[8:9], 0, 0
	s_and_saveexec_b64 s[4:5], s[0:1]
	s_cbranch_execz .LBB4_497
; %bb.492:
	v_mov_b32_e32 v3, 0
	global_load_dwordx2 v[6:7], v3, s[2:3] offset:24 glc
	s_waitcnt vmcnt(0)
	buffer_invl2
	buffer_wbinvl1_vol
	global_load_dwordx2 v[4:5], v3, s[2:3] offset:40
	global_load_dwordx2 v[8:9], v3, s[2:3]
	s_waitcnt vmcnt(1)
	v_and_b32_e32 v4, v4, v6
	v_and_b32_e32 v5, v5, v7
	v_mul_lo_u32 v5, v5, 24
	v_mul_hi_u32 v10, v4, 24
	v_mul_lo_u32 v4, v4, 24
	v_add_u32_e32 v5, v10, v5
	s_waitcnt vmcnt(0)
	v_add_co_u32_e32 v4, vcc, v8, v4
	v_addc_co_u32_e32 v5, vcc, v9, v5, vcc
	global_load_dwordx2 v[4:5], v[4:5], off glc
	s_waitcnt vmcnt(0)
	global_atomic_cmpswap_x2 v[8:9], v3, v[4:7], s[2:3] offset:24 glc
	s_waitcnt vmcnt(0)
	buffer_invl2
	buffer_wbinvl1_vol
	v_cmp_ne_u64_e32 vcc, v[8:9], v[6:7]
	s_and_saveexec_b64 s[6:7], vcc
	s_cbranch_execz .LBB4_496
; %bb.493:
	s_mov_b64 s[8:9], 0
.LBB4_494:                              ; =>This Inner Loop Header: Depth=1
	s_sleep 1
	global_load_dwordx2 v[4:5], v3, s[2:3] offset:40
	global_load_dwordx2 v[10:11], v3, s[2:3]
	v_pk_mov_b32 v[6:7], v[8:9], v[8:9] op_sel:[0,1]
	s_waitcnt vmcnt(1)
	v_and_b32_e32 v4, v4, v6
	v_and_b32_e32 v9, v5, v7
	s_waitcnt vmcnt(0)
	v_mad_u64_u32 v[4:5], s[10:11], v4, 24, v[10:11]
	v_mov_b32_e32 v8, v5
	v_mad_u64_u32 v[8:9], s[10:11], v9, 24, v[8:9]
	v_mov_b32_e32 v5, v8
	global_load_dwordx2 v[4:5], v[4:5], off glc
	s_waitcnt vmcnt(0)
	global_atomic_cmpswap_x2 v[8:9], v3, v[4:7], s[2:3] offset:24 glc
	s_waitcnt vmcnt(0)
	buffer_invl2
	buffer_wbinvl1_vol
	v_cmp_eq_u64_e32 vcc, v[8:9], v[6:7]
	s_or_b64 s[8:9], vcc, s[8:9]
	s_andn2_b64 exec, exec, s[8:9]
	s_cbranch_execnz .LBB4_494
; %bb.495:
	s_or_b64 exec, exec, s[8:9]
.LBB4_496:
	s_or_b64 exec, exec, s[6:7]
.LBB4_497:
	s_or_b64 exec, exec, s[4:5]
	v_mov_b32_e32 v3, 0
	global_load_dwordx2 v[10:11], v3, s[2:3] offset:40
	global_load_dwordx4 v[4:7], v3, s[2:3]
	v_readfirstlane_b32 s4, v8
	v_readfirstlane_b32 s5, v9
	s_mov_b64 s[6:7], exec
	s_waitcnt vmcnt(1)
	v_readfirstlane_b32 s8, v10
	v_readfirstlane_b32 s9, v11
	s_and_b64 s[8:9], s[4:5], s[8:9]
	s_mul_i32 s10, s9, 24
	s_mul_hi_u32 s11, s8, 24
	s_mul_i32 s12, s8, 24
	s_add_i32 s10, s11, s10
	v_mov_b32_e32 v9, s10
	s_waitcnt vmcnt(0)
	v_add_co_u32_e32 v8, vcc, s12, v4
	v_addc_co_u32_e32 v9, vcc, v5, v9, vcc
	s_and_saveexec_b64 s[10:11], s[0:1]
	s_cbranch_execz .LBB4_499
; %bb.498:
	v_pk_mov_b32 v[10:11], s[6:7], s[6:7] op_sel:[0,1]
	v_mov_b32_e32 v12, 2
	v_mov_b32_e32 v13, 1
	global_store_dwordx4 v[8:9], v[10:13], off offset:8
.LBB4_499:
	s_or_b64 exec, exec, s[10:11]
	s_lshl_b64 s[6:7], s[8:9], 12
	v_mov_b32_e32 v10, s7
	v_add_co_u32_e32 v6, vcc, s6, v6
	v_addc_co_u32_e32 v7, vcc, v7, v10, vcc
	s_movk_i32 s6, 0xff1d
	s_mov_b32 s8, 0
	v_and_or_b32 v0, v0, s6, 34
	v_readfirstlane_b32 s6, v6
	v_readfirstlane_b32 s7, v7
	s_mov_b32 s9, s8
	s_mov_b32 s10, s8
	;; [unrolled: 1-line block ×3, first 2 shown]
	s_nop 1
	global_store_dwordx4 v36, v[0:3], s[6:7]
	s_nop 0
	v_pk_mov_b32 v[0:1], s[8:9], s[8:9] op_sel:[0,1]
	v_pk_mov_b32 v[2:3], s[10:11], s[10:11] op_sel:[0,1]
	global_store_dwordx4 v36, v[0:3], s[6:7] offset:16
	global_store_dwordx4 v36, v[0:3], s[6:7] offset:32
	;; [unrolled: 1-line block ×3, first 2 shown]
	s_and_saveexec_b64 s[6:7], s[0:1]
	s_cbranch_execz .LBB4_507
; %bb.500:
	v_mov_b32_e32 v6, 0
	global_load_dwordx2 v[12:13], v6, s[2:3] offset:32 glc
	global_load_dwordx2 v[0:1], v6, s[2:3] offset:40
	v_mov_b32_e32 v10, s4
	v_mov_b32_e32 v11, s5
	s_waitcnt vmcnt(0)
	v_readfirstlane_b32 s8, v0
	v_readfirstlane_b32 s9, v1
	s_and_b64 s[8:9], s[8:9], s[4:5]
	s_mul_i32 s9, s9, 24
	s_mul_hi_u32 s10, s8, 24
	s_mul_i32 s8, s8, 24
	s_add_i32 s9, s10, s9
	v_mov_b32_e32 v0, s9
	v_add_co_u32_e32 v4, vcc, s8, v4
	v_addc_co_u32_e32 v5, vcc, v5, v0, vcc
	global_store_dwordx2 v[4:5], v[12:13], off
	buffer_wbl2
	s_waitcnt vmcnt(0)
	global_atomic_cmpswap_x2 v[2:3], v6, v[10:13], s[2:3] offset:32 glc
	s_waitcnt vmcnt(0)
	v_cmp_ne_u64_e32 vcc, v[2:3], v[12:13]
	s_and_saveexec_b64 s[8:9], vcc
	s_cbranch_execz .LBB4_503
; %bb.501:
	s_mov_b64 s[10:11], 0
.LBB4_502:                              ; =>This Inner Loop Header: Depth=1
	s_sleep 1
	global_store_dwordx2 v[4:5], v[2:3], off
	v_mov_b32_e32 v0, s4
	v_mov_b32_e32 v1, s5
	buffer_wbl2
	s_waitcnt vmcnt(0)
	global_atomic_cmpswap_x2 v[0:1], v6, v[0:3], s[2:3] offset:32 glc
	s_waitcnt vmcnt(0)
	v_cmp_eq_u64_e32 vcc, v[0:1], v[2:3]
	s_or_b64 s[10:11], vcc, s[10:11]
	v_pk_mov_b32 v[2:3], v[0:1], v[0:1] op_sel:[0,1]
	s_andn2_b64 exec, exec, s[10:11]
	s_cbranch_execnz .LBB4_502
.LBB4_503:
	s_or_b64 exec, exec, s[8:9]
	v_mov_b32_e32 v3, 0
	global_load_dwordx2 v[0:1], v3, s[2:3] offset:16
	s_mov_b64 s[8:9], exec
	v_mbcnt_lo_u32_b32 v2, s8, 0
	v_mbcnt_hi_u32_b32 v2, s9, v2
	v_cmp_eq_u32_e32 vcc, 0, v2
	s_and_saveexec_b64 s[10:11], vcc
	s_cbranch_execz .LBB4_505
; %bb.504:
	s_bcnt1_i32_b64 s8, s[8:9]
	v_mov_b32_e32 v2, s8
	buffer_wbl2
	s_waitcnt vmcnt(0)
	global_atomic_add_x2 v[0:1], v[2:3], off offset:8
.LBB4_505:
	s_or_b64 exec, exec, s[10:11]
	s_waitcnt vmcnt(0)
	global_load_dwordx2 v[2:3], v[0:1], off offset:16
	s_waitcnt vmcnt(0)
	v_cmp_eq_u64_e32 vcc, 0, v[2:3]
	s_cbranch_vccnz .LBB4_507
; %bb.506:
	global_load_dword v0, v[0:1], off offset:24
	v_mov_b32_e32 v1, 0
	buffer_wbl2
	s_waitcnt vmcnt(0)
	global_store_dwordx2 v[2:3], v[0:1], off
	v_and_b32_e32 v0, 0xffffff, v0
	v_readfirstlane_b32 m0, v0
	s_sendmsg sendmsg(MSG_INTERRUPT)
.LBB4_507:
	s_or_b64 exec, exec, s[6:7]
	s_branch .LBB4_511
.LBB4_508:                              ;   in Loop: Header=BB4_511 Depth=1
	s_or_b64 exec, exec, s[6:7]
	v_readfirstlane_b32 s6, v0
	s_cmp_eq_u32 s6, 0
	s_cbranch_scc1 .LBB4_510
; %bb.509:                              ;   in Loop: Header=BB4_511 Depth=1
	s_sleep 1
	s_cbranch_execnz .LBB4_511
	s_branch .LBB4_513
.LBB4_510:
	s_branch .LBB4_513
.LBB4_511:                              ; =>This Inner Loop Header: Depth=1
	v_mov_b32_e32 v0, 1
	s_and_saveexec_b64 s[6:7], s[0:1]
	s_cbranch_execz .LBB4_508
; %bb.512:                              ;   in Loop: Header=BB4_511 Depth=1
	global_load_dword v0, v[8:9], off offset:20 glc
	s_waitcnt vmcnt(0)
	buffer_invl2
	buffer_wbinvl1_vol
	v_and_b32_e32 v0, 1, v0
	s_branch .LBB4_508
.LBB4_513:
	s_and_b64 exec, exec, s[0:1]
	s_cbranch_execz .LBB4_516
; %bb.514:
	v_mov_b32_e32 v6, 0
	global_load_dwordx2 v[4:5], v6, s[2:3] offset:40
	global_load_dwordx2 v[8:9], v6, s[2:3] offset:24 glc
	global_load_dwordx2 v[10:11], v6, s[2:3]
	v_mov_b32_e32 v1, s5
	s_mov_b64 s[0:1], 0
	s_waitcnt vmcnt(2)
	v_add_co_u32_e32 v3, vcc, 1, v4
	v_addc_co_u32_e32 v7, vcc, 0, v5, vcc
	v_add_co_u32_e32 v0, vcc, s4, v3
	v_addc_co_u32_e32 v1, vcc, v7, v1, vcc
	v_cmp_eq_u64_e32 vcc, 0, v[0:1]
	v_cndmask_b32_e32 v1, v1, v7, vcc
	v_cndmask_b32_e32 v0, v0, v3, vcc
	v_and_b32_e32 v3, v1, v5
	v_and_b32_e32 v4, v0, v4
	v_mul_lo_u32 v3, v3, 24
	v_mul_hi_u32 v5, v4, 24
	v_mul_lo_u32 v4, v4, 24
	v_add_u32_e32 v3, v5, v3
	s_waitcnt vmcnt(0)
	v_add_co_u32_e32 v4, vcc, v10, v4
	v_addc_co_u32_e32 v5, vcc, v11, v3, vcc
	v_mov_b32_e32 v2, v8
	global_store_dwordx2 v[4:5], v[8:9], off
	v_mov_b32_e32 v3, v9
	buffer_wbl2
	s_waitcnt vmcnt(0)
	global_atomic_cmpswap_x2 v[2:3], v6, v[0:3], s[2:3] offset:24 glc
	s_waitcnt vmcnt(0)
	v_cmp_ne_u64_e32 vcc, v[2:3], v[8:9]
	s_and_b64 exec, exec, vcc
	s_cbranch_execz .LBB4_516
.LBB4_515:                              ; =>This Inner Loop Header: Depth=1
	s_sleep 1
	global_store_dwordx2 v[4:5], v[2:3], off
	buffer_wbl2
	s_waitcnt vmcnt(0)
	global_atomic_cmpswap_x2 v[8:9], v6, v[0:3], s[2:3] offset:24 glc
	s_waitcnt vmcnt(0)
	v_cmp_eq_u64_e32 vcc, v[8:9], v[2:3]
	s_or_b64 s[0:1], vcc, s[0:1]
	v_pk_mov_b32 v[2:3], v[8:9], v[8:9] op_sel:[0,1]
	s_andn2_b64 exec, exec, s[0:1]
	s_cbranch_execnz .LBB4_515
.LBB4_516:
	s_endpgm
	.section	.rodata,"a",@progbits
	.p2align	6, 0x0
	.amdhsa_kernel _Z30kernel_coalesced_active_groupsv
		.amdhsa_group_segment_fixed_size 0
		.amdhsa_private_segment_fixed_size 0
		.amdhsa_kernarg_size 256
		.amdhsa_user_sgpr_count 6
		.amdhsa_user_sgpr_private_segment_buffer 1
		.amdhsa_user_sgpr_dispatch_ptr 0
		.amdhsa_user_sgpr_queue_ptr 0
		.amdhsa_user_sgpr_kernarg_segment_ptr 1
		.amdhsa_user_sgpr_dispatch_id 0
		.amdhsa_user_sgpr_flat_scratch_init 0
		.amdhsa_user_sgpr_kernarg_preload_length 0
		.amdhsa_user_sgpr_kernarg_preload_offset 0
		.amdhsa_user_sgpr_private_segment_size 0
		.amdhsa_uses_dynamic_stack 0
		.amdhsa_system_sgpr_private_segment_wavefront_offset 0
		.amdhsa_system_sgpr_workgroup_id_x 1
		.amdhsa_system_sgpr_workgroup_id_y 0
		.amdhsa_system_sgpr_workgroup_id_z 0
		.amdhsa_system_sgpr_workgroup_info 0
		.amdhsa_system_vgpr_workitem_id 2
		.amdhsa_next_free_vgpr 37
		.amdhsa_next_free_sgpr 27
		.amdhsa_accum_offset 40
		.amdhsa_reserve_vcc 1
		.amdhsa_reserve_flat_scratch 0
		.amdhsa_float_round_mode_32 0
		.amdhsa_float_round_mode_16_64 0
		.amdhsa_float_denorm_mode_32 3
		.amdhsa_float_denorm_mode_16_64 3
		.amdhsa_dx10_clamp 1
		.amdhsa_ieee_mode 1
		.amdhsa_fp16_overflow 0
		.amdhsa_tg_split 0
		.amdhsa_exception_fp_ieee_invalid_op 0
		.amdhsa_exception_fp_denorm_src 0
		.amdhsa_exception_fp_ieee_div_zero 0
		.amdhsa_exception_fp_ieee_overflow 0
		.amdhsa_exception_fp_ieee_underflow 0
		.amdhsa_exception_fp_ieee_inexact 0
		.amdhsa_exception_int_div_zero 0
	.end_amdhsa_kernel
	.text
.Lfunc_end4:
	.size	_Z30kernel_coalesced_active_groupsv, .Lfunc_end4-_Z30kernel_coalesced_active_groupsv
                                        ; -- End function
	.section	.AMDGPU.csdata,"",@progbits
; Kernel info:
; codeLenInByte = 19656
; NumSgprs: 31
; NumVgprs: 37
; NumAgprs: 0
; TotalNumVgprs: 37
; ScratchSize: 0
; MemoryBound: 0
; FloatMode: 240
; IeeeMode: 1
; LDSByteSize: 0 bytes/workgroup (compile time only)
; SGPRBlocks: 3
; VGPRBlocks: 4
; NumSGPRsForWavesPerEU: 31
; NumVGPRsForWavesPerEU: 37
; AccumOffset: 40
; Occupancy: 8
; WaveLimiterHint : 1
; COMPUTE_PGM_RSRC2:SCRATCH_EN: 0
; COMPUTE_PGM_RSRC2:USER_SGPR: 6
; COMPUTE_PGM_RSRC2:TRAP_HANDLER: 0
; COMPUTE_PGM_RSRC2:TGID_X_EN: 1
; COMPUTE_PGM_RSRC2:TGID_Y_EN: 0
; COMPUTE_PGM_RSRC2:TGID_Z_EN: 0
; COMPUTE_PGM_RSRC2:TIDIG_COMP_CNT: 2
; COMPUTE_PGM_RSRC3_GFX90A:ACCUM_OFFSET: 9
; COMPUTE_PGM_RSRC3_GFX90A:TG_SPLIT: 0
	.text
	.p2alignl 6, 3212836864
	.fill 256, 4, 3212836864
	.type	.str,@object                    ; @.str
	.section	.rodata.str1.1,"aMS",@progbits,1
.str:
	.asciz	" Sum of all ranks 0..%d in coalesced_group is %d\n\n"
	.size	.str, 51

	.type	.str.1,@object                  ; @.str.1
.str.1:
	.asciz	" Creating %d groups, of tile size %d threads:\n\n"
	.size	.str.1, 48

	.type	.str.2,@object                  ; @.str.2
.str.2:
	.asciz	"   Sum of all ranks 0..%d in this tiledPartition group is %d. Corresponding parent thread rank obtained from meta_group_rank : %d and number of tiles created : %d\n"
	.size	.str.2, 164

	.type	.str.3,@object                  ; @.str.3
.str.3:
	.asciz	" Creating odd and even set of active thread groups based on branch divergence\n\n"
	.size	.str.3, 80

	.type	.str.4,@object                  ; @.str.4
.str.4:
	.asciz	" ODD: Size of odd set of active threads is %d. Corresponding parent thread_rank is %d.\n\n"
	.size	.str.4, 89

	.type	.str.5,@object                  ; @.str.5
.str.5:
	.asciz	" EVEN: Size of even set of active threads is %d. Corresponding parent thread_rank is %d."
	.size	.str.5, 89

	.type	__hip_cuid_7c020836b97f0c24,@object ; @__hip_cuid_7c020836b97f0c24
	.section	.bss,"aw",@nobits
	.globl	__hip_cuid_7c020836b97f0c24
__hip_cuid_7c020836b97f0c24:
	.byte	0                               ; 0x0
	.size	__hip_cuid_7c020836b97f0c24, 1

	.ident	"AMD clang version 19.0.0git (https://github.com/RadeonOpenCompute/llvm-project roc-6.4.0 25133 c7fe45cf4b819c5991fe208aaa96edf142730f1d)"
	.section	".note.GNU-stack","",@progbits
	.addrsig
	.addrsig_sym __hip_cuid_7c020836b97f0c24
	.amdgpu_metadata
---
amdhsa.kernels:
  - .agpr_count:     0
    .args:
      - .address_space:  global
        .offset:         0
        .size:           8
        .value_kind:     global_buffer
      - .address_space:  global
        .offset:         8
        .size:           8
        .value_kind:     global_buffer
      - .offset:         16
        .size:           4
        .value_kind:     by_value
      - .offset:         20
        .size:           4
        .value_kind:     by_value
      - .offset:         24
        .size:           4
        .value_kind:     hidden_block_count_x
      - .offset:         28
        .size:           4
        .value_kind:     hidden_block_count_y
      - .offset:         32
        .size:           4
        .value_kind:     hidden_block_count_z
      - .offset:         36
        .size:           2
        .value_kind:     hidden_group_size_x
      - .offset:         38
        .size:           2
        .value_kind:     hidden_group_size_y
      - .offset:         40
        .size:           2
        .value_kind:     hidden_group_size_z
      - .offset:         42
        .size:           2
        .value_kind:     hidden_remainder_x
      - .offset:         44
        .size:           2
        .value_kind:     hidden_remainder_y
      - .offset:         46
        .size:           2
        .value_kind:     hidden_remainder_z
      - .offset:         64
        .size:           8
        .value_kind:     hidden_global_offset_x
      - .offset:         72
        .size:           8
        .value_kind:     hidden_global_offset_y
      - .offset:         80
        .size:           8
        .value_kind:     hidden_global_offset_z
      - .offset:         88
        .size:           2
        .value_kind:     hidden_grid_dims
    .group_segment_fixed_size: 0
    .kernarg_segment_align: 8
    .kernarg_segment_size: 280
    .language:       OpenCL C
    .language_version:
      - 2
      - 0
    .max_flat_workgroup_size: 1024
    .name:           _Z11kernel_shflPiS_ii
    .private_segment_fixed_size: 0
    .sgpr_count:     14
    .sgpr_spill_count: 0
    .symbol:         _Z11kernel_shflPiS_ii.kd
    .uniform_work_group_size: 1
    .uses_dynamic_stack: false
    .vgpr_count:     4
    .vgpr_spill_count: 0
    .wavefront_size: 64
  - .agpr_count:     0
    .args:
      - .address_space:  global
        .offset:         0
        .size:           8
        .value_kind:     global_buffer
      - .address_space:  global
        .offset:         8
        .size:           8
        .value_kind:     global_buffer
      - .address_space:  global
        .offset:         16
        .size:           8
        .value_kind:     global_buffer
      - .offset:         24
        .size:           4
        .value_kind:     by_value
      - .offset:         32
        .size:           4
        .value_kind:     hidden_block_count_x
      - .offset:         36
        .size:           4
        .value_kind:     hidden_block_count_y
      - .offset:         40
        .size:           4
        .value_kind:     hidden_block_count_z
      - .offset:         44
        .size:           2
        .value_kind:     hidden_group_size_x
      - .offset:         46
        .size:           2
        .value_kind:     hidden_group_size_y
      - .offset:         48
        .size:           2
        .value_kind:     hidden_group_size_z
      - .offset:         50
        .size:           2
        .value_kind:     hidden_remainder_x
      - .offset:         52
        .size:           2
        .value_kind:     hidden_remainder_y
      - .offset:         54
        .size:           2
        .value_kind:     hidden_remainder_z
      - .offset:         72
        .size:           8
        .value_kind:     hidden_global_offset_x
      - .offset:         80
        .size:           8
        .value_kind:     hidden_global_offset_y
      - .offset:         88
        .size:           8
        .value_kind:     hidden_global_offset_z
      - .offset:         96
        .size:           2
        .value_kind:     hidden_grid_dims
    .group_segment_fixed_size: 0
    .kernarg_segment_align: 8
    .kernarg_segment_size: 288
    .language:       OpenCL C
    .language_version:
      - 2
      - 0
    .max_flat_workgroup_size: 1024
    .name:           _Z22kernel_shfl_any_to_anyPiS_S_i
    .private_segment_fixed_size: 0
    .sgpr_count:     16
    .sgpr_spill_count: 0
    .symbol:         _Z22kernel_shfl_any_to_anyPiS_S_i.kd
    .uniform_work_group_size: 1
    .uses_dynamic_stack: false
    .vgpr_count:     9
    .vgpr_spill_count: 0
    .wavefront_size: 64
  - .agpr_count:     0
    .args:
      - .address_space:  global
        .offset:         0
        .size:           8
        .value_kind:     global_buffer
      - .address_space:  global
        .offset:         8
        .size:           8
        .value_kind:     global_buffer
      - .address_space:  global
        .offset:         16
        .size:           8
        .value_kind:     global_buffer
      - .offset:         24
        .size:           4
        .value_kind:     by_value
      - .offset:         32
        .size:           4
        .value_kind:     hidden_block_count_x
      - .offset:         36
        .size:           4
        .value_kind:     hidden_block_count_y
      - .offset:         40
        .size:           4
        .value_kind:     hidden_block_count_z
      - .offset:         44
        .size:           2
        .value_kind:     hidden_group_size_x
      - .offset:         46
        .size:           2
        .value_kind:     hidden_group_size_y
      - .offset:         48
        .size:           2
        .value_kind:     hidden_group_size_z
      - .offset:         50
        .size:           2
        .value_kind:     hidden_remainder_x
      - .offset:         52
        .size:           2
        .value_kind:     hidden_remainder_y
      - .offset:         54
        .size:           2
        .value_kind:     hidden_remainder_z
      - .offset:         72
        .size:           8
        .value_kind:     hidden_global_offset_x
      - .offset:         80
        .size:           8
        .value_kind:     hidden_global_offset_y
      - .offset:         88
        .size:           8
        .value_kind:     hidden_global_offset_z
      - .offset:         96
        .size:           2
        .value_kind:     hidden_grid_dims
    .group_segment_fixed_size: 0
    .kernarg_segment_align: 8
    .kernarg_segment_size: 288
    .language:       OpenCL C
    .language_version:
      - 2
      - 0
    .max_flat_workgroup_size: 1024
    .name:           _Z10filter_arrPiS_PKii
    .private_segment_fixed_size: 0
    .sgpr_count:     26
    .sgpr_spill_count: 0
    .symbol:         _Z10filter_arrPiS_PKii.kd
    .uniform_work_group_size: 1
    .uses_dynamic_stack: false
    .vgpr_count:     9
    .vgpr_spill_count: 0
    .wavefront_size: 64
  - .agpr_count:     0
    .args:
      - .offset:         0
        .size:           4
        .value_kind:     by_value
      - .address_space:  global
        .offset:         8
        .size:           8
        .value_kind:     global_buffer
      - .offset:         16
        .size:           1
        .value_kind:     by_value
      - .address_space:  global
        .offset:         24
        .size:           8
        .value_kind:     global_buffer
      - .offset:         32
        .size:           4
        .value_kind:     by_value
      - .offset:         40
        .size:           4
        .value_kind:     hidden_block_count_x
      - .offset:         44
        .size:           4
        .value_kind:     hidden_block_count_y
      - .offset:         48
        .size:           4
        .value_kind:     hidden_block_count_z
      - .offset:         52
        .size:           2
        .value_kind:     hidden_group_size_x
      - .offset:         54
        .size:           2
        .value_kind:     hidden_group_size_y
      - .offset:         56
        .size:           2
        .value_kind:     hidden_group_size_z
      - .offset:         58
        .size:           2
        .value_kind:     hidden_remainder_x
      - .offset:         60
        .size:           2
        .value_kind:     hidden_remainder_y
      - .offset:         62
        .size:           2
        .value_kind:     hidden_remainder_z
      - .offset:         80
        .size:           8
        .value_kind:     hidden_global_offset_x
      - .offset:         88
        .size:           8
        .value_kind:     hidden_global_offset_y
      - .offset:         96
        .size:           8
        .value_kind:     hidden_global_offset_z
      - .offset:         104
        .size:           2
        .value_kind:     hidden_grid_dims
      - .offset:         120
        .size:           8
        .value_kind:     hidden_hostcall_buffer
      - .offset:         160
        .size:           4
        .value_kind:     hidden_dynamic_lds_size
    .group_segment_fixed_size: 0
    .kernarg_segment_align: 8
    .kernarg_segment_size: 296
    .language:       OpenCL C
    .language_version:
      - 2
      - 0
    .max_flat_workgroup_size: 1024
    .name:           _Z35kernel_cg_coalesced_group_partitionjPibS_i
    .private_segment_fixed_size: 0
    .sgpr_count:     38
    .sgpr_spill_count: 0
    .symbol:         _Z35kernel_cg_coalesced_group_partitionjPibS_i.kd
    .uniform_work_group_size: 1
    .uses_dynamic_stack: false
    .vgpr_count:     40
    .vgpr_spill_count: 0
    .wavefront_size: 64
  - .agpr_count:     0
    .args:
      - .offset:         0
        .size:           4
        .value_kind:     hidden_block_count_x
      - .offset:         4
        .size:           4
        .value_kind:     hidden_block_count_y
      - .offset:         8
        .size:           4
        .value_kind:     hidden_block_count_z
      - .offset:         12
        .size:           2
        .value_kind:     hidden_group_size_x
      - .offset:         14
        .size:           2
        .value_kind:     hidden_group_size_y
      - .offset:         16
        .size:           2
        .value_kind:     hidden_group_size_z
      - .offset:         18
        .size:           2
        .value_kind:     hidden_remainder_x
      - .offset:         20
        .size:           2
        .value_kind:     hidden_remainder_y
      - .offset:         22
        .size:           2
        .value_kind:     hidden_remainder_z
      - .offset:         40
        .size:           8
        .value_kind:     hidden_global_offset_x
      - .offset:         48
        .size:           8
        .value_kind:     hidden_global_offset_y
      - .offset:         56
        .size:           8
        .value_kind:     hidden_global_offset_z
      - .offset:         64
        .size:           2
        .value_kind:     hidden_grid_dims
      - .offset:         80
        .size:           8
        .value_kind:     hidden_hostcall_buffer
    .group_segment_fixed_size: 0
    .kernarg_segment_align: 8
    .kernarg_segment_size: 256
    .language:       OpenCL C
    .language_version:
      - 2
      - 0
    .max_flat_workgroup_size: 1024
    .name:           _Z30kernel_coalesced_active_groupsv
    .private_segment_fixed_size: 0
    .sgpr_count:     31
    .sgpr_spill_count: 0
    .symbol:         _Z30kernel_coalesced_active_groupsv.kd
    .uniform_work_group_size: 1
    .uses_dynamic_stack: false
    .vgpr_count:     37
    .vgpr_spill_count: 0
    .wavefront_size: 64
amdhsa.target:   amdgcn-amd-amdhsa--gfx90a
amdhsa.version:
  - 1
  - 2
...

	.end_amdgpu_metadata
